;; amdgpu-corpus repo=ROCm/rocFFT kind=compiled arch=gfx1201 opt=O3
	.text
	.amdgcn_target "amdgcn-amd-amdhsa--gfx1201"
	.amdhsa_code_object_version 6
	.protected	bluestein_single_back_len1008_dim1_half_op_CI_CI ; -- Begin function bluestein_single_back_len1008_dim1_half_op_CI_CI
	.globl	bluestein_single_back_len1008_dim1_half_op_CI_CI
	.p2align	8
	.type	bluestein_single_back_len1008_dim1_half_op_CI_CI,@function
bluestein_single_back_len1008_dim1_half_op_CI_CI: ; @bluestein_single_back_len1008_dim1_half_op_CI_CI
; %bb.0:
	s_load_b128 s[16:19], s[0:1], 0x28
	v_mul_u32_u24_e32 v1, 0x493, v0
	s_mov_b32 s2, exec_lo
	v_mov_b32_e32 v13, 0
	s_delay_alu instid0(VALU_DEP_2) | instskip(NEXT) | instid1(VALU_DEP_1)
	v_lshrrev_b32_e32 v1, 16, v1
	v_add_nc_u32_e32 v12, ttmp9, v1
	s_wait_kmcnt 0x0
	s_delay_alu instid0(VALU_DEP_1)
	v_cmpx_gt_u64_e64 s[16:17], v[12:13]
	s_cbranch_execz .LBB0_10
; %bb.1:
	s_clause 0x1
	s_load_b128 s[4:7], s[0:1], 0x18
	s_load_b128 s[8:11], s[0:1], 0x0
	v_mul_lo_u16 v1, v1, 56
	s_movk_i32 s2, 0xf900
	s_mov_b32 s3, -1
	s_delay_alu instid0(VALU_DEP_1) | instskip(NEXT) | instid1(VALU_DEP_1)
	v_sub_nc_u16 v2, v0, v1
	v_and_b32_e32 v84, 0xffff, v2
	s_delay_alu instid0(VALU_DEP_1) | instskip(SKIP_2) | instid1(VALU_DEP_1)
	v_or_b32_e32 v55, 0x1c0, v84
	s_wait_kmcnt 0x0
	s_load_b128 s[12:15], s[4:5], 0x0
	v_lshlrev_b32_e32 v99, 3, v55
	s_wait_kmcnt 0x0
	v_mad_co_u64_u32 v[0:1], null, s14, v12, 0
	v_mad_co_u64_u32 v[7:8], null, s12, v55, 0
	s_mul_u64 s[4:5], s[12:13], 0x7e0
	s_mul_u64 s[2:3], s[12:13], s[2:3]
	s_delay_alu instid0(VALU_DEP_2) | instskip(NEXT) | instid1(VALU_DEP_2)
	v_mad_co_u64_u32 v[9:10], null, s15, v12, v[1:2]
	v_mov_b32_e32 v1, v8
	v_or_b32_e32 v56, 0x380, v84
	v_mad_co_u64_u32 v[3:4], null, s12, v84, 0
	v_and_b32_e32 v40, 1, v84
	v_lshlrev_b32_e32 v96, 3, v84
	s_delay_alu instid0(VALU_DEP_4) | instskip(NEXT) | instid1(VALU_DEP_3)
	v_mad_co_u64_u32 v[5:6], null, s12, v56, 0
	v_lshlrev_b32_e32 v41, 2, v40
	s_delay_alu instid0(VALU_DEP_2) | instskip(NEXT) | instid1(VALU_DEP_3)
	v_mad_co_u64_u32 v[10:11], null, s13, v84, v[4:5]
	v_mad_co_u64_u32 v[13:14], null, s13, v56, v[6:7]
	;; [unrolled: 1-line block ×3, first 2 shown]
	v_mov_b32_e32 v1, v9
	s_delay_alu instid0(VALU_DEP_4)
	v_dual_mov_b32 v4, v10 :: v_dual_lshlrev_b32 v67, 2, v84
	s_clause 0x4
	global_load_b32 v81, v67, s[8:9] offset:2464
	global_load_b32 v77, v67, s[8:9] offset:2688
	;; [unrolled: 1-line block ×5, first 2 shown]
	v_mov_b32_e32 v6, v13
	v_lshlrev_b64_e32 v[0:1], 2, v[0:1]
	v_lshlrev_b64_e32 v[3:4], 2, v[3:4]
	v_mov_b32_e32 v8, v14
	s_clause 0x7
	global_load_b32 v91, v67, s[8:9]
	global_load_b32 v89, v67, s[8:9] offset:224
	global_load_b32 v83, v67, s[8:9] offset:448
	;; [unrolled: 1-line block ×7, first 2 shown]
	v_lshlrev_b64_e32 v[5:6], 2, v[5:6]
	s_clause 0x2
	global_load_b32 v86, v67, s[8:9] offset:2240
	global_load_b32 v90, v67, s[8:9] offset:2016
	;; [unrolled: 1-line block ×3, first 2 shown]
	v_add_co_u32 v9, vcc_lo, s18, v0
	v_add_co_ci_u32_e32 v10, vcc_lo, s19, v1, vcc_lo
	v_lshlrev_b64_e32 v[0:1], 2, v[7:8]
	s_delay_alu instid0(VALU_DEP_3) | instskip(SKIP_1) | instid1(VALU_DEP_3)
	v_add_co_u32 v3, vcc_lo, v9, v3
	s_wait_alu 0xfffd
	v_add_co_ci_u32_e32 v4, vcc_lo, v10, v4, vcc_lo
	v_add_co_u32 v5, vcc_lo, v9, v5
	s_wait_alu 0xfffd
	v_add_co_ci_u32_e32 v6, vcc_lo, v10, v6, vcc_lo
	v_add_co_u32 v0, vcc_lo, v9, v0
	s_wait_alu 0xfffd
	v_add_co_ci_u32_e32 v1, vcc_lo, v10, v1, vcc_lo
	s_clause 0x1
	global_load_b32 v60, v67, s[8:9] offset:3584
	global_load_b32 v57, v67, s[8:9] offset:3808
	global_load_b32 v15, v[3:4], off
	v_add_co_u32 v3, vcc_lo, v3, s4
	s_wait_alu 0xfffd
	v_add_co_ci_u32_e32 v4, vcc_lo, s5, v4, vcc_lo
	s_clause 0x1
	global_load_b32 v16, v[5:6], off
	global_load_b32 v17, v[0:1], off
	v_add_co_u32 v0, vcc_lo, v3, s2
	s_wait_alu 0xfffd
	v_add_co_ci_u32_e32 v1, vcc_lo, s3, v4, vcc_lo
	global_load_b32 v18, v[3:4], off
	v_add_co_u32 v11, null, 0x118, v84
	global_load_b32 v19, v[0:1], off
	v_add_co_u32 v3, vcc_lo, v0, s4
	s_wait_alu 0xfffd
	v_add_co_ci_u32_e32 v4, vcc_lo, s5, v1, vcc_lo
	v_lshlrev_b32_e32 v102, 3, v11
	s_delay_alu instid0(VALU_DEP_3) | instskip(SKIP_1) | instid1(VALU_DEP_3)
	v_add_co_u32 v5, vcc_lo, v3, s2
	s_wait_alu 0xfffd
	v_add_co_ci_u32_e32 v6, vcc_lo, s3, v4, vcc_lo
	global_load_b32 v20, v[3:4], off
	v_add_co_u32 v0, vcc_lo, v5, s4
	global_load_b32 v21, v[5:6], off
	s_wait_alu 0xfffd
	v_add_co_ci_u32_e32 v1, vcc_lo, s5, v6, vcc_lo
	v_add_co_u32 v3, vcc_lo, v0, s2
	s_wait_alu 0xfffd
	s_delay_alu instid0(VALU_DEP_2) | instskip(NEXT) | instid1(VALU_DEP_2)
	v_add_co_ci_u32_e32 v4, vcc_lo, s3, v1, vcc_lo
	v_add_co_u32 v7, vcc_lo, v3, s4
	global_load_b32 v22, v[0:1], off
	s_wait_alu 0xfffd
	v_add_co_ci_u32_e32 v8, vcc_lo, s5, v4, vcc_lo
	v_add_co_u32 v5, vcc_lo, v7, s2
	global_load_b32 v23, v[3:4], off
	s_wait_alu 0xfffd
	;; [unrolled: 4-line block ×5, first 2 shown]
	v_add_co_ci_u32_e32 v4, vcc_lo, s5, v10, vcc_lo
	v_add_co_u32 v7, vcc_lo, v3, s2
	s_wait_alu 0xfffd
	s_delay_alu instid0(VALU_DEP_2) | instskip(NEXT) | instid1(VALU_DEP_2)
	v_add_co_ci_u32_e32 v8, vcc_lo, s3, v4, vcc_lo
	v_add_co_u32 v5, vcc_lo, v7, s4
	global_load_b32 v27, v[9:10], off
	global_load_b32 v28, v[3:4], off
	;; [unrolled: 1-line block ×3, first 2 shown]
	s_wait_alu 0xfffd
	v_add_co_ci_u32_e32 v6, vcc_lo, s5, v8, vcc_lo
	v_add_co_u32 v13, vcc_lo, v5, s2
	v_add_co_u32 v8, null, v84, 56
	s_wait_alu 0xfffd
	s_delay_alu instid0(VALU_DEP_3)
	v_add_co_ci_u32_e32 v14, vcc_lo, s3, v6, vcc_lo
	global_load_b32 v30, v[5:6], off
	v_add_nc_u32_e32 v6, 0x400, v67
	v_cmp_gt_u16_e32 vcc_lo, 48, v2
	v_mad_co_u64_u32 v[0:1], null, 0x8c0, s12, v[13:14]
	v_add_nc_u32_e32 v7, 0x200, v67
	v_add_nc_u32_e32 v5, 0xc00, v67
	v_add_co_u32 v9, null, 0xa8, v84
	v_add_co_u32 v10, null, 0xe0, v84
	v_mad_co_u64_u32 v[3:4], null, 0x8c0, s13, v[1:2]
	v_add_nc_u32_e32 v4, 0x800, v67
	v_lshlrev_b32_e32 v98, 3, v8
	v_lshlrev_b32_e32 v104, 3, v9
	;; [unrolled: 1-line block ×3, first 2 shown]
	v_mov_b32_e32 v1, v3
	global_load_b32 v13, v[13:14], off
	global_load_b32 v1, v[0:1], off
	s_load_b128 s[4:7], s[6:7], 0x0
	v_lshlrev_b32_e32 v0, 1, v84
	v_add_co_u32 v3, null, 0x70, v84
	s_delay_alu instid0(VALU_DEP_2) | instskip(NEXT) | instid1(VALU_DEP_2)
	v_add_nc_u32_e32 v156, 0x2a0, v0
	v_lshlrev_b32_e32 v106, 3, v3
	v_add_nc_u32_e32 v157, 0x310, v0
	s_wait_loadcnt 0x23
	v_lshrrev_b32_e32 v85, 16, v81
	s_wait_loadcnt 0x22
	v_lshrrev_b32_e32 v80, 16, v77
	;; [unrolled: 2-line block ×7, first 2 shown]
	v_lshrrev_b32_e32 v76, 16, v73
	s_wait_loadcnt 0x19
	v_lshrrev_b32_e32 v74, 16, v71
	s_wait_loadcnt 0x16
	v_lshrrev_b32_e32 v88, 16, v86
	s_wait_loadcnt 0x15
	v_lshrrev_b32_e32 v93, 16, v90
	s_wait_loadcnt 0x14
	v_lshrrev_b32_e32 v61, 16, v58
	v_lshrrev_b32_e32 v72, 16, v69
	;; [unrolled: 1-line block ×5, first 2 shown]
	s_wait_loadcnt 0x13
	v_lshrrev_b32_e32 v63, 16, v60
	s_wait_loadcnt 0x12
	v_lshrrev_b32_e32 v59, 16, v57
	s_wait_loadcnt 0x11
	v_lshrrev_b32_e32 v14, 16, v15
	v_mul_f16_e32 v31, v94, v15
	s_wait_loadcnt 0x10
	v_lshrrev_b32_e32 v32, 16, v16
	v_mul_f16_e32 v33, v63, v16
	s_wait_loadcnt 0xf
	v_lshrrev_b32_e32 v34, 16, v17
	v_mul_f16_e32 v35, v61, v17
	v_mul_f16_e32 v36, v94, v14
	v_fma_f16 v14, v91, v14, -v31
	s_wait_loadcnt 0xe
	v_lshrrev_b32_e32 v31, 16, v18
	v_mul_f16_e32 v37, v93, v18
	v_mul_f16_e32 v38, v63, v32
	v_fma_f16 v32, v60, v32, -v33
	v_mul_f16_e32 v33, v61, v34
	v_fma_f16 v34, v58, v34, -v35
	v_fmac_f16_e32 v36, v91, v15
	v_mul_f16_e32 v15, v93, v31
	s_wait_loadcnt 0xd
	v_lshrrev_b32_e32 v35, 16, v19
	v_fma_f16 v31, v90, v31, -v37
	v_mul_f16_e32 v37, v92, v19
	v_fmac_f16_e32 v38, v60, v16
	v_fmac_f16_e32 v15, v90, v18
	v_mul_f16_e32 v16, v92, v35
	s_wait_loadcnt 0xc
	v_lshrrev_b32_e32 v18, 16, v20
	v_fmac_f16_e32 v33, v58, v17
	v_fma_f16 v17, v89, v35, -v37
	v_mul_f16_e32 v35, v88, v20
	v_pack_b32_f16 v15, v15, v31
	v_fmac_f16_e32 v16, v89, v19
	v_mul_f16_e32 v19, v88, v18
	s_wait_loadcnt 0xb
	v_lshrrev_b32_e32 v31, 16, v21
	v_pack_b32_f16 v14, v36, v14
	v_pack_b32_f16 v33, v33, v34
	v_fma_f16 v18, v86, v18, -v35
	v_mul_f16_e32 v34, v87, v21
	ds_store_b32 v67, v15 offset:2016
	v_pack_b32_f16 v15, v16, v17
	v_fmac_f16_e32 v19, v86, v20
	v_mul_f16_e32 v16, v87, v31
	s_wait_loadcnt 0xa
	v_lshrrev_b32_e32 v20, 16, v22
	v_fma_f16 v17, v83, v31, -v34
	v_mul_f16_e32 v31, v85, v22
	ds_store_2addr_b32 v67, v14, v15 offset1:56
	v_pack_b32_f16 v14, v19, v18
	v_fmac_f16_e32 v16, v83, v21
	v_mul_f16_e32 v15, v85, v20
	s_wait_loadcnt 0x9
	v_lshrrev_b32_e32 v19, 16, v23
	v_fma_f16 v18, v81, v20, -v31
	v_mul_f16_e32 v20, v82, v23
	v_pack_b32_f16 v16, v16, v17
	v_fmac_f16_e32 v15, v81, v22
	v_mul_f16_e32 v17, v82, v19
	s_wait_loadcnt 0x8
	v_lshrrev_b32_e32 v21, 16, v24
	v_mul_f16_e32 v22, v80, v24
	v_fma_f16 v19, v79, v19, -v20
	v_pack_b32_f16 v15, v15, v18
	v_fmac_f16_e32 v17, v79, v23
	v_mul_f16_e32 v18, v80, v21
	v_fma_f16 v20, v77, v21, -v22
	s_wait_loadcnt 0x7
	v_lshrrev_b32_e32 v21, 16, v25
	v_mul_f16_e32 v22, v78, v25
	ds_store_2addr_b32 v4, v14, v15 offset0:48 offset1:104
	v_pack_b32_f16 v14, v17, v19
	v_fmac_f16_e32 v18, v77, v24
	v_mul_f16_e32 v15, v78, v21
	s_wait_loadcnt 0x6
	v_lshrrev_b32_e32 v19, 16, v26
	v_fma_f16 v17, v75, v21, -v22
	v_mul_f16_e32 v21, v76, v26
	ds_store_2addr_b32 v67, v16, v14 offset0:112 offset1:168
	v_pack_b32_f16 v14, v18, v20
	v_fmac_f16_e32 v15, v75, v25
	v_mul_f16_e32 v16, v76, v19
	s_wait_loadcnt 0x5
	v_lshrrev_b32_e32 v18, 16, v27
	v_mul_f16_e32 v20, v74, v27
	v_fma_f16 v19, v73, v19, -v21
	v_pack_b32_f16 v15, v15, v17
	v_fmac_f16_e32 v16, v73, v26
	v_mul_f16_e32 v17, v74, v18
	v_fma_f16 v18, v71, v18, -v20
	s_wait_loadcnt 0x4
	v_lshrrev_b32_e32 v20, 16, v28
	v_mul_f16_e32 v21, v72, v28
	v_pack_b32_f16 v16, v16, v19
	v_fmac_f16_e32 v17, v71, v27
	s_wait_loadcnt 0x3
	v_lshrrev_b32_e32 v19, 16, v29
	v_mul_f16_e32 v22, v72, v20
	v_fma_f16 v20, v69, v20, -v21
	v_mul_f16_e32 v21, v70, v29
	s_wait_loadcnt 0x2
	v_lshrrev_b32_e32 v23, 16, v30
	v_pack_b32_f16 v17, v17, v18
	v_mul_f16_e32 v18, v70, v19
	v_fmac_f16_e32 v22, v69, v28
	v_fma_f16 v19, v66, v19, -v21
	v_mul_f16_e32 v21, v68, v30
	v_mul_f16_e32 v25, v68, v23
	v_fmac_f16_e32 v18, v66, v29
	v_pack_b32_f16 v32, v38, v32
	s_wait_loadcnt 0x1
	v_lshrrev_b32_e32 v24, 16, v13
	s_wait_loadcnt 0x0
	v_lshrrev_b32_e32 v26, 16, v1
	v_fma_f16 v21, v64, v23, -v21
	v_mul_f16_e32 v23, v65, v13
	v_mul_f16_e32 v28, v59, v1
	v_mul_f16_e32 v27, v65, v24
	v_mul_f16_e32 v29, v59, v26
	v_fmac_f16_e32 v25, v64, v30
	v_fma_f16 v23, v62, v24, -v23
	v_pack_b32_f16 v18, v18, v19
	v_fmac_f16_e32 v27, v62, v13
	v_fma_f16 v13, v57, v26, -v28
	v_fmac_f16_e32 v29, v57, v1
	v_pack_b32_f16 v1, v22, v20
	v_pack_b32_f16 v19, v25, v21
	;; [unrolled: 1-line block ×3, first 2 shown]
	ds_store_b32 v67, v33 offset:1792
	v_pack_b32_f16 v13, v29, v13
	ds_store_2addr_b32 v4, v14, v16 offset0:160 offset1:216
	ds_store_2addr_b32 v7, v15, v17 offset0:96 offset1:152
	;; [unrolled: 1-line block ×5, first 2 shown]
	global_wb scope:SCOPE_SE
	s_wait_dscnt 0x0
	s_wait_kmcnt 0x0
	s_barrier_signal -1
	s_barrier_wait -1
	global_inv scope:SCOPE_SE
	ds_load_2addr_b32 v[13:14], v67 offset1:56
	ds_load_2addr_b32 v[15:16], v6 offset0:192 offset1:248
	ds_load_2addr_b32 v[17:18], v4 offset0:48 offset1:104
	;; [unrolled: 1-line block ×8, first 2 shown]
	v_lshlrev_b32_e32 v1, 2, v0
	global_wb scope:SCOPE_SE
	s_wait_dscnt 0x0
	s_barrier_signal -1
	s_barrier_wait -1
	global_inv scope:SCOPE_SE
	v_add_nc_u32_e32 v1, 0x800, v1
	v_pk_add_f16 v31, v13, v16 neg_lo:[0,1] neg_hi:[0,1]
	v_pk_add_f16 v17, v14, v17 neg_lo:[0,1] neg_hi:[0,1]
	v_pk_add_f16 v33, v19, v18 neg_lo:[0,1] neg_hi:[0,1]
	v_pk_add_f16 v21, v20, v21 neg_lo:[0,1] neg_hi:[0,1]
	v_pk_add_f16 v35, v23, v22 neg_lo:[0,1] neg_hi:[0,1]
	v_pk_add_f16 v25, v24, v25 neg_lo:[0,1] neg_hi:[0,1]
	v_pk_add_f16 v37, v27, v26 neg_lo:[0,1] neg_hi:[0,1]
	v_pk_add_f16 v29, v28, v29 neg_lo:[0,1] neg_hi:[0,1]
	v_pk_add_f16 v39, v15, v30 neg_lo:[0,1] neg_hi:[0,1]
	v_pk_fma_f16 v30, v13, 2.0, v31 op_sel_hi:[1,0,1] neg_lo:[0,0,1] neg_hi:[0,0,1]
	v_pk_fma_f16 v16, v14, 2.0, v17 op_sel_hi:[1,0,1] neg_lo:[0,0,1] neg_hi:[0,0,1]
	;; [unrolled: 1-line block ×9, first 2 shown]
	ds_store_b64 v96, v[30:31]
	ds_store_b64 v98, v[16:17]
	ds_store_b64 v106, v[32:33]
	ds_store_b64 v104, v[20:21]
	ds_store_b64 v103, v[34:35]
	ds_store_b64 v102, v[24:25]
	ds_store_2addr_b64 v1, v[36:37], v[28:29] offset0:80 offset1:136
	ds_store_b64 v99, v[38:39]
	global_wb scope:SCOPE_SE
	s_wait_dscnt 0x0
	s_barrier_signal -1
	s_barrier_wait -1
	global_inv scope:SCOPE_SE
	global_load_b32 v95, v41, s[10:11]
	v_lshlrev_b32_e32 v1, 1, v8
	v_and_or_b32 v19, 0x7c, v0, v40
	v_lshlrev_b32_e32 v13, 1, v3
	v_lshlrev_b32_e32 v14, 1, v9
	;; [unrolled: 1-line block ×3, first 2 shown]
	v_and_or_b32 v31, 0x3fc, v156, v40
	v_lshlrev_b32_e32 v112, 2, v19
	v_and_or_b32 v19, 0xfc, v1, v40
	v_and_or_b32 v25, 0x1fc, v13, v40
	;; [unrolled: 1-line block ×4, first 2 shown]
	v_lshlrev_b32_e32 v15, 1, v10
	v_lshlrev_b32_e32 v113, 2, v19
	ds_load_2addr_b32 v[19:20], v6 offset0:192 offset1:248
	ds_load_2addr_b32 v[21:22], v67 offset1:56
	ds_load_2addr_b32 v[23:24], v4 offset0:48 offset1:104
	v_lshlrev_b32_e32 v111, 2, v25
	v_lshlrev_b32_e32 v110, 2, v26
	ds_load_2addr_b32 v[25:26], v4 offset0:160 offset1:216
	v_lshlrev_b32_e32 v17, 1, v55
	v_lshlrev_b32_e32 v108, 2, v29
	ds_load_2addr_b32 v[29:30], v5 offset0:16 offset1:72
	v_lshlrev_b32_e32 v105, 2, v31
	ds_load_2addr_b32 v[31:32], v5 offset0:128 offset1:184
	v_and_or_b32 v27, 0x3fc, v15, v40
	v_and_or_b32 v33, 0x3fc, v157, v40
	;; [unrolled: 1-line block ×3, first 2 shown]
	v_and_b32_e32 v18, 3, v84
	s_delay_alu instid0(VALU_DEP_4)
	v_lshlrev_b32_e32 v109, 2, v27
	ds_load_2addr_b32 v[27:28], v67 offset0:112 offset1:168
	v_lshlrev_b32_e32 v101, 2, v33
	ds_load_2addr_b32 v[33:34], v7 offset0:96 offset1:152
	;; [unrolled: 2-line block ×3, first 2 shown]
	s_wait_dscnt 0x8
	v_lshrrev_b32_e32 v38, 16, v20
	s_wait_dscnt 0x6
	v_lshrrev_b32_e32 v40, 16, v23
	v_lshrrev_b32_e32 v42, 16, v24
	s_wait_dscnt 0x5
	v_lshrrev_b32_e32 v43, 16, v25
	v_lshrrev_b32_e32 v44, 16, v26
	;; [unrolled: 1-line block ×3, first 2 shown]
	s_wait_dscnt 0x4
	v_lshrrev_b32_e32 v47, 16, v29
	v_lshrrev_b32_e32 v48, 16, v30
	s_wait_dscnt 0x3
	v_lshrrev_b32_e32 v49, 16, v31
	v_lshrrev_b32_e32 v50, 16, v32
	;; [unrolled: 1-line block ×4, first 2 shown]
	v_lshlrev_b32_e32 v37, 2, v18
	global_wb scope:SCOPE_SE
	s_wait_loadcnt_dscnt 0x0
	s_barrier_signal -1
	v_lshrrev_b32_e32 v45, 16, v27
	v_lshrrev_b32_e32 v46, 16, v28
	;; [unrolled: 1-line block ×6, first 2 shown]
	s_barrier_wait -1
	global_inv scope:SCOPE_SE
	v_lshrrev_b32_e32 v107, 16, v95
	s_delay_alu instid0(VALU_DEP_1)
	v_mul_f16_e32 v114, v38, v107
	v_mul_f16_e32 v115, v20, v107
	;; [unrolled: 1-line block ×14, first 2 shown]
	v_mul_f16_e64 v128, v50, v107
	v_mul_f16_e64 v129, v30, v107
	;; [unrolled: 1-line block ×4, first 2 shown]
	v_fma_f16 v20, v20, v95, -v114
	v_fmac_f16_e32 v115, v38, v95
	v_fma_f16 v23, v23, v95, -v116
	v_fmac_f16_e32 v117, v40, v95
	;; [unrolled: 2-line block ×5, first 2 shown]
	v_fma_f16 v29, v29, v95, -v124
	v_fma_f16 v30, v30, v95, -v126
	;; [unrolled: 1-line block ×4, first 2 shown]
	v_fmac_f16_e32 v125, v47, v95
	v_fmac_f16_e64 v129, v48, v95
	v_fmac_f16_e64 v130, v49, v95
	;; [unrolled: 1-line block ×3, first 2 shown]
	v_sub_f16_e32 v20, v21, v20
	v_sub_f16_e32 v38, v39, v115
	v_sub_f16_e32 v23, v22, v23
	v_sub_f16_e32 v40, v41, v117
	v_sub_f16_e32 v24, v27, v24
	v_sub_f16_e32 v42, v45, v119
	v_sub_f16_e32 v25, v28, v25
	v_sub_f16_e32 v43, v46, v121
	v_sub_f16_e32 v26, v33, v26
	v_sub_f16_e32 v44, v51, v123
	v_sub_f16_e32 v29, v34, v29
	v_sub_f16_e32 v30, v35, v30
	v_sub_f16_e32 v31, v36, v31
	v_sub_f16_e32 v32, v19, v32
	v_sub_f16_e32 v47, v52, v125
	v_sub_f16_e64 v48, v53, v129
	v_sub_f16_e64 v49, v54, v130
	v_sub_f16_e64 v50, v97, v131
	v_fma_f16 v21, v21, 2.0, -v20
	v_fma_f16 v39, v39, 2.0, -v38
	v_pack_b32_f16 v20, v20, v38
	v_fma_f16 v22, v22, 2.0, -v23
	v_fma_f16 v38, v41, 2.0, -v40
	v_pack_b32_f16 v23, v23, v40
	v_fma_f16 v27, v27, 2.0, -v24
	v_fma_f16 v40, v45, 2.0, -v42
	;; [unrolled: 1-line block ×4, first 2 shown]
	v_pack_b32_f16 v24, v24, v42
	v_fma_f16 v33, v33, 2.0, -v26
	v_fma_f16 v42, v51, 2.0, -v44
	v_pack_b32_f16 v25, v25, v43
	v_fma_f16 v34, v34, 2.0, -v29
	v_fma_f16 v35, v35, 2.0, -v30
	;; [unrolled: 1-line block ×4, first 2 shown]
	v_pack_b32_f16 v26, v26, v44
	v_fma_f16 v43, v52, 2.0, -v47
	v_fma_f16 v44, v53, 2.0, -v48
	;; [unrolled: 1-line block ×4, first 2 shown]
	v_pack_b32_f16 v21, v21, v39
	v_pack_b32_f16 v22, v22, v38
	;; [unrolled: 1-line block ×13, first 2 shown]
	ds_store_2addr_b32 v112, v21, v20 offset1:2
	ds_store_2addr_b32 v113, v22, v23 offset1:2
	ds_store_2addr_b32 v111, v27, v24 offset1:2
	ds_store_2addr_b32 v110, v28, v25 offset1:2
	ds_store_2addr_b32 v109, v33, v26 offset1:2
	ds_store_2addr_b32 v108, v34, v29 offset1:2
	ds_store_2addr_b32 v105, v35, v30 offset1:2
	ds_store_2addr_b32 v101, v36, v31 offset1:2
	ds_store_2addr_b32 v100, v19, v32 offset1:2
	global_wb scope:SCOPE_SE
	s_wait_dscnt 0x0
	s_barrier_signal -1
	s_barrier_wait -1
	global_inv scope:SCOPE_SE
	global_load_b32 v97, v37, s[10:11] offset:8
	v_and_or_b32 v19, 0x78, v0, v18
	v_and_or_b32 v24, 0x1f8, v13, v18
	;; [unrolled: 1-line block ×5, first 2 shown]
	v_lshlrev_b32_e32 v147, 2, v19
	v_and_or_b32 v19, 0xf8, v1, v18
	v_and_or_b32 v34, 0x3f8, v17, v18
	;; [unrolled: 1-line block ×4, first 2 shown]
	v_lshlrev_b32_e32 v141, 2, v24
	v_lshlrev_b32_e32 v143, 2, v19
	ds_load_2addr_b32 v[18:19], v6 offset0:192 offset1:248
	ds_load_2addr_b32 v[20:21], v67 offset1:56
	ds_load_2addr_b32 v[22:23], v4 offset0:48 offset1:104
	v_lshlrev_b32_e32 v138, 2, v25
	ds_load_2addr_b32 v[24:25], v67 offset0:112 offset1:168
	ds_load_2addr_b32 v[26:27], v4 offset0:160 offset1:216
	v_lshlrev_b32_e32 v135, 2, v28
	v_lshlrev_b32_e32 v132, 2, v29
	ds_load_2addr_b32 v[28:29], v7 offset0:96 offset1:152
	ds_load_2addr_b32 v[30:31], v5 offset0:16 offset1:72
	v_lshlrev_b32_e32 v124, 2, v34
	ds_load_2addr_b32 v[34:35], v5 offset0:128 offset1:184
	v_lshlrev_b32_e32 v129, 2, v32
	v_lshlrev_b32_e32 v127, 2, v33
	ds_load_2addr_b32 v[32:33], v6 offset0:80 offset1:136
	v_and_b32_e32 v36, 7, v84
	global_wb scope:SCOPE_SE
	s_wait_loadcnt_dscnt 0x0
	s_barrier_signal -1
	s_barrier_wait -1
	global_inv scope:SCOPE_SE
	v_lshlrev_b32_e32 v37, 2, v36
	v_and_or_b32 v0, 0x70, v0, v36
	v_lshrrev_b32_e32 v38, 16, v19
	v_lshrrev_b32_e32 v39, 16, v20
	;; [unrolled: 1-line block ×18, first 2 shown]
	v_lshlrev_b32_e32 v153, 2, v0
	v_and_or_b32 v0, 0xf0, v1, v36
	v_and_or_b32 v17, 0x3f0, v17, v36
	s_delay_alu instid0(VALU_DEP_2) | instskip(SKIP_1) | instid1(VALU_DEP_1)
	v_lshlrev_b32_e32 v152, 2, v0
	v_lshrrev_b32_e32 v131, 16, v97
	v_mul_f16_e64 v115, v19, v131
	v_mul_f16_e64 v116, v38, v131
	;; [unrolled: 1-line block ×18, first 2 shown]
	v_fmac_f16_e32 v115, v38, v97
	v_fma_f16 v19, v19, v97, -v116
	v_fmac_f16_e32 v117, v40, v97
	v_fma_f16 v22, v22, v97, -v118
	v_fma_f16 v23, v23, v97, -v119
	v_fmac_f16_e32 v120, v42, v97
	v_fmac_f16_e32 v121, v44, v97
	v_fma_f16 v26, v26, v97, -v122
	v_fma_f16 v27, v27, v97, -v123
	v_fmac_f16_e32 v125, v46, v97
	v_fmac_f16_e32 v126, v48, v97
	v_fma_f16 v30, v30, v97, -v128
	v_fma_f16 v31, v31, v97, -v130
	v_fmac_f16_e64 v133, v50, v97
	v_fmac_f16_e64 v134, v52, v97
	v_fma_f16 v34, v34, v97, -v136
	v_fma_f16 v35, v35, v97, -v137
	v_fmac_f16_e64 v139, v54, v97
	v_sub_f16_e32 v38, v39, v115
	v_sub_f16_e32 v19, v20, v19
	;; [unrolled: 1-line block ×12, first 2 shown]
	v_sub_f16_e64 v50, v51, v133
	v_sub_f16_e32 v31, v32, v31
	v_sub_f16_e32 v34, v33, v34
	v_sub_f16_e64 v52, v53, v134
	v_sub_f16_e32 v35, v18, v35
	v_sub_f16_e64 v54, v114, v139
	v_fma_f16 v39, v39, 2.0, -v38
	v_pack_b32_f16 v38, v19, v38
	v_fma_f16 v19, v20, 2.0, -v19
	v_fma_f16 v20, v21, 2.0, -v22
	;; [unrolled: 1-line block ×3, first 2 shown]
	v_pack_b32_f16 v22, v22, v40
	v_fma_f16 v40, v43, 2.0, -v42
	v_pack_b32_f16 v41, v23, v42
	v_fma_f16 v23, v24, 2.0, -v23
	v_fma_f16 v24, v25, 2.0, -v26
	;; [unrolled: 1-line block ×4, first 2 shown]
	v_pack_b32_f16 v43, v27, v46
	v_fma_f16 v27, v28, 2.0, -v27
	v_pack_b32_f16 v26, v26, v44
	v_fma_f16 v28, v29, 2.0, -v30
	v_fma_f16 v29, v49, 2.0, -v48
	;; [unrolled: 1-line block ×3, first 2 shown]
	v_pack_b32_f16 v45, v31, v50
	v_fma_f16 v31, v32, 2.0, -v31
	v_fma_f16 v32, v33, 2.0, -v34
	;; [unrolled: 1-line block ×5, first 2 shown]
	v_pack_b32_f16 v19, v19, v39
	v_pack_b32_f16 v20, v20, v21
	;; [unrolled: 1-line block ×12, first 2 shown]
	ds_store_2addr_b32 v147, v19, v38 offset1:4
	ds_store_2addr_b32 v143, v20, v22 offset1:4
	;; [unrolled: 1-line block ×9, first 2 shown]
	global_wb scope:SCOPE_SE
	s_wait_dscnt 0x0
	s_barrier_signal -1
	s_barrier_wait -1
	global_inv scope:SCOPE_SE
	global_load_b32 v114, v37, s[10:11] offset:24
	v_and_or_b32 v19, 0x1f0, v13, v36
	v_and_or_b32 v20, 0x1f0, v14, v36
	;; [unrolled: 1-line block ×4, first 2 shown]
	ds_load_2addr_b32 v[0:1], v6 offset0:192 offset1:248
	ds_load_2addr_b32 v[13:14], v67 offset1:56
	ds_load_2addr_b32 v[15:16], v4 offset0:48 offset1:104
	v_lshlrev_b32_e32 v149, 2, v19
	v_lshlrev_b32_e32 v146, 2, v20
	ds_load_2addr_b32 v[19:20], v67 offset0:112 offset1:168
	ds_load_2addr_b32 v[21:22], v4 offset0:160 offset1:216
	v_lshlrev_b32_e32 v139, 2, v23
	v_lshlrev_b32_e32 v136, 2, v24
	ds_load_2addr_b32 v[23:24], v7 offset0:96 offset1:152
	ds_load_2addr_b32 v[25:26], v5 offset0:16 offset1:72
	;; [unrolled: 1-line block ×3, first 2 shown]
	v_and_or_b32 v27, 0x3f0, v156, v36
	v_and_or_b32 v28, 0x3f0, v157, v36
	v_lshlrev_b32_e32 v128, 2, v17
	v_and_b32_e32 v31, 15, v11
	v_and_b32_e32 v32, 15, v9
	v_lshlrev_b32_e32 v133, 2, v27
	v_lshlrev_b32_e32 v130, 2, v28
	ds_load_2addr_b32 v[27:28], v6 offset0:80 offset1:136
	v_and_b32_e32 v18, 15, v84
	v_lshlrev_b32_e32 v34, 3, v31
	s_wait_dscnt 0x8
	v_lshrrev_b32_e32 v17, 16, v1
	s_wait_dscnt 0x7
	v_lshrrev_b32_e32 v36, 16, v13
	;; [unrolled: 2-line block ×3, first 2 shown]
	v_lshrrev_b32_e32 v39, 16, v16
	v_lshrrev_b32_e32 v38, 16, v14
	s_wait_dscnt 0x4
	v_lshrrev_b32_e32 v41, 16, v21
	v_lshrrev_b32_e32 v43, 16, v22
	v_lshrrev_b32_e32 v40, 16, v19
	s_wait_dscnt 0x2
	v_lshrrev_b32_e32 v45, 16, v25
	v_lshrrev_b32_e32 v47, 16, v26
	s_wait_dscnt 0x1
	v_lshrrev_b32_e32 v49, 16, v29
	v_lshrrev_b32_e32 v51, 16, v30
	;; [unrolled: 1-line block ×6, first 2 shown]
	global_wb scope:SCOPE_SE
	s_wait_loadcnt_dscnt 0x0
	v_lshrrev_b32_e32 v48, 16, v27
	v_lshrrev_b32_e32 v50, 16, v28
	s_barrier_signal -1
	s_barrier_wait -1
	global_inv scope:SCOPE_SE
	v_lshlrev_b32_e32 v35, 3, v32
	v_lshlrev_b32_e32 v33, 3, v18
	v_lshrrev_b32_e32 v134, 16, v114
	s_delay_alu instid0(VALU_DEP_1)
	v_mul_f16_e64 v53, v1, v134
	v_mul_f16_e64 v54, v17, v134
	;; [unrolled: 1-line block ×18, first 2 shown]
	v_fmac_f16_e32 v53, v17, v114
	v_fma_f16 v1, v1, v114, -v54
	v_fmac_f16_e32 v115, v37, v114
	v_fma_f16 v15, v15, v114, -v116
	v_fma_f16 v16, v16, v114, -v117
	v_fmac_f16_e32 v118, v39, v114
	v_fmac_f16_e32 v119, v41, v114
	v_fma_f16 v17, v21, v114, -v120
	v_fma_f16 v21, v22, v114, -v121
	v_fmac_f16_e32 v122, v43, v114
	v_fmac_f16_e32 v123, v45, v114
	v_fma_f16 v22, v25, v114, -v125
	v_fma_f16 v25, v26, v114, -v126
	v_fmac_f16_e64 v137, v47, v114
	v_fmac_f16_e64 v140, v49, v114
	v_fma_f16 v26, v29, v114, -v142
	v_fma_f16 v29, v30, v114, -v144
	v_fmac_f16_e64 v145, v51, v114
	v_sub_f16_e32 v30, v36, v53
	v_sub_f16_e32 v1, v13, v1
	;; [unrolled: 1-line block ×12, first 2 shown]
	v_sub_f16_e64 v47, v48, v137
	v_sub_f16_e32 v25, v27, v25
	v_sub_f16_e32 v26, v28, v26
	v_sub_f16_e64 v49, v50, v140
	v_sub_f16_e32 v29, v0, v29
	v_sub_f16_e64 v51, v52, v145
	v_fma_f16 v36, v36, 2.0, -v30
	v_pack_b32_f16 v30, v1, v30
	v_fma_f16 v1, v13, 2.0, -v1
	v_fma_f16 v13, v14, 2.0, -v15
	;; [unrolled: 1-line block ×3, first 2 shown]
	v_pack_b32_f16 v15, v15, v37
	v_fma_f16 v37, v40, 2.0, -v39
	v_pack_b32_f16 v38, v16, v39
	v_fma_f16 v16, v19, 2.0, -v16
	v_fma_f16 v19, v20, 2.0, -v17
	;; [unrolled: 1-line block ×4, first 2 shown]
	v_pack_b32_f16 v40, v21, v43
	v_fma_f16 v21, v23, 2.0, -v21
	v_pack_b32_f16 v17, v17, v41
	v_fma_f16 v23, v24, 2.0, -v22
	v_fma_f16 v24, v46, 2.0, -v45
	;; [unrolled: 1-line block ×3, first 2 shown]
	v_pack_b32_f16 v42, v25, v47
	v_fma_f16 v25, v27, 2.0, -v25
	v_fma_f16 v27, v28, 2.0, -v26
	;; [unrolled: 1-line block ×5, first 2 shown]
	v_pack_b32_f16 v1, v1, v36
	v_pack_b32_f16 v13, v13, v14
	;; [unrolled: 1-line block ×12, first 2 shown]
	ds_store_2addr_b32 v153, v1, v30 offset1:8
	ds_store_2addr_b32 v152, v13, v15 offset1:8
	;; [unrolled: 1-line block ×9, first 2 shown]
	v_and_b32_e32 v17, 15, v8
	global_wb scope:SCOPE_SE
	s_wait_dscnt 0x0
	s_barrier_signal -1
	s_barrier_wait -1
	global_inv scope:SCOPE_SE
	s_clause 0x8
	global_load_b32 v119, v34, s[10:11] offset:56
	global_load_b32 v123, v34, s[10:11] offset:58
	;; [unrolled: 1-line block ×3, first 2 shown]
	global_load_u16 v118, v34, s[10:11] offset:62
	global_load_u16 v148, v35, s[10:11] offset:56
	global_load_b64 v[15:16], v33, s[10:11] offset:56
	global_load_u16 v150, v35, s[10:11] offset:58
	global_load_u16 v144, v35, s[10:11] offset:62
	;; [unrolled: 1-line block ×3, first 2 shown]
	v_lshlrev_b32_e32 v0, 3, v17
	v_lshrrev_b32_e32 v13, 4, v84
	v_lshrrev_b32_e32 v20, 4, v8
	;; [unrolled: 1-line block ×4, first 2 shown]
	global_load_u16 v155, v0, s[10:11] offset:56
	v_add_co_u32 v0, s2, 0xffffffd0, v84
	s_wait_alu 0xf1ff
	v_add_co_ci_u32_e64 v1, null, 0, -1, s2
	v_mul_u32_u24_e32 v19, 48, v13
	s_delay_alu instid0(VALU_DEP_3) | instskip(SKIP_1) | instid1(VALU_DEP_4)
	v_cndmask_b32_e32 v0, v0, v84, vcc_lo
	v_lshrrev_b32_e32 v23, 4, v10
	v_cndmask_b32_e64 v1, v1, 0, vcc_lo
	v_lshrrev_b32_e32 v24, 4, v11
	v_and_b32_e32 v25, 0xff, v8
	v_and_b32_e32 v26, 0xff, v9
	;; [unrolled: 1-line block ×5, first 2 shown]
	v_lshlrev_b64_e32 v[13:14], 3, v[0:1]
	v_or_b32_e32 v1, v19, v18
	v_mul_u32_u24_e32 v19, 48, v20
	v_mul_u32_u24_e32 v20, 48, v21
	;; [unrolled: 1-line block ×5, first 2 shown]
	v_mul_lo_u16 v24, 0xab, v25
	v_mul_lo_u16 v25, 0xab, v26
	;; [unrolled: 1-line block ×3, first 2 shown]
	v_mul_u32_u24_e32 v27, 0xaaab, v28
	v_mul_u32_u24_e32 v28, 0xaaab, v29
	v_lshlrev_b32_e32 v154, 2, v1
	v_or_b32_e32 v1, v19, v17
	v_or_b32_e32 v17, v20, v18
	;; [unrolled: 1-line block ×3, first 2 shown]
	v_lshrrev_b32_e32 v37, 21, v28
	v_or_b32_e32 v19, v21, v32
	v_or_b32_e32 v18, v22, v18
	v_lshrrev_b16 v33, 13, v24
	v_lshrrev_b16 v34, 13, v25
	;; [unrolled: 1-line block ×3, first 2 shown]
	v_lshrrev_b32_e32 v36, 21, v27
	v_lshlrev_b32_e32 v125, 2, v20
	v_mul_lo_u16 v20, v37, 48
	v_lshlrev_b32_e32 v151, 2, v1
	v_lshlrev_b32_e32 v145, 2, v17
	;; [unrolled: 1-line block ×4, first 2 shown]
	v_mul_lo_u16 v1, v33, 48
	v_mul_lo_u16 v17, v35, 48
	;; [unrolled: 1-line block ×4, first 2 shown]
	v_sub_nc_u16 v39, v11, v20
	v_sub_nc_u16 v1, v8, v1
	;; [unrolled: 1-line block ×5, first 2 shown]
	v_lshlrev_b16 v19, 3, v39
	ds_load_2addr_b32 v[10:11], v4 offset0:160 offset1:216
	v_and_b32_e32 v41, 0xff, v8
	v_and_b32_e32 v42, 0xff, v9
	ds_load_2addr_b32 v[8:9], v6 offset0:80 offset1:136
	ds_load_2addr_b32 v[17:18], v67 offset1:56
	v_and_b32_e32 v46, 0xffff, v19
	ds_load_2addr_b32 v[19:20], v6 offset0:192 offset1:248
	ds_load_2addr_b32 v[21:22], v67 offset0:112 offset1:168
	;; [unrolled: 1-line block ×6, first 2 shown]
	v_and_b32_e32 v40, 0xff, v1
	v_lshlrev_b16 v1, 3, v38
	v_add_co_u32 v13, vcc_lo, s10, v13
	s_wait_alu 0xfffd
	v_add_co_ci_u32_e32 v14, vcc_lo, s11, v14, vcc_lo
	s_delay_alu instid0(VALU_DEP_3)
	v_and_b32_e32 v1, 0xffff, v1
	v_lshlrev_b32_e32 v43, 3, v40
	v_lshlrev_b32_e32 v44, 3, v41
	global_wb scope:SCOPE_SE
	s_wait_loadcnt_dscnt 0x0
	s_barrier_signal -1
	v_add_co_u32 v27, s2, s10, v1
	v_lshrrev_b32_e32 v48, 16, v10
	v_lshrrev_b32_e32 v49, 16, v11
	;; [unrolled: 1-line block ×18, first 2 shown]
	s_barrier_wait -1
	global_inv scope:SCOPE_SE
	v_lshlrev_b32_e32 v45, 3, v42
	s_wait_alu 0xf1ff
	v_add_co_ci_u32_e64 v28, null, s11, 0, s2
	v_cmp_lt_u16_e32 vcc_lo, 47, v2
	v_lshrrev_b32_e32 v184, 16, v119
	v_mul_f16_e64 v165, v121, v123
	v_lshrrev_b32_e32 v183, 16, v115
	v_mul_f16_e64 v166, v26, v123
	v_mul_f16_e64 v167, v140, v118
	v_lshrrev_b32_e32 v177, 16, v15
	v_lshrrev_b32_e32 v176, 16, v16
	v_mul_f16_e64 v161, v52, v150
	v_mul_f16_e64 v162, v20, v150
	;; [unrolled: 1-line block ×5, first 2 shown]
	v_lshrrev_b32_e32 v182, 16, v123
	v_mul_f16_e64 v169, v1, v177
	v_mul_f16_e64 v170, v47, v184
	;; [unrolled: 1-line block ×8, first 2 shown]
	v_fma_f16 v20, v20, v148, -v161
	v_mul_f16_e64 v161, v53, v177
	v_mul_f16_e64 v179, v19, v177
	v_fma_f16 v24, v24, v142, -v163
	v_mul_f16_e64 v163, v116, v176
	v_mul_f16_e64 v180, v23, v176
	v_fmac_f16_e64 v162, v52, v148
	v_fmac_f16_e64 v164, v54, v142
	v_fma_f16 v26, v26, v119, -v165
	v_mul_f16_e64 v52, v122, v177
	v_mul_f16_e64 v54, v25, v177
	v_fma_f16 v30, v30, v115, -v167
	v_mul_f16_e64 v165, v158, v176
	v_mul_f16_e64 v167, v29, v176
	v_fmac_f16_e64 v166, v121, v119
	v_fmac_f16_e64 v168, v140, v115
	v_fma_f16 v8, v8, v15, -v169
	v_fma_f16 v9, v9, v155, -v170
	;; [unrolled: 1-line block ×4, first 2 shown]
	v_fmac_f16_e64 v171, v1, v15
	v_fmac_f16_e64 v175, v48, v16
	;; [unrolled: 1-line block ×4, first 2 shown]
	v_fma_f16 v1, v19, v15, -v161
	v_fma_f16 v19, v23, v16, -v163
	v_fmac_f16_e64 v179, v53, v15
	v_fmac_f16_e64 v180, v116, v16
	v_add_f16_e32 v23, v20, v24
	v_add_f16_e32 v47, v22, v20
	v_add_f16_e64 v48, v162, v164
	v_add_f16_e64 v49, v117, v162
	v_fma_f16 v25, v25, v15, -v52
	v_fma_f16 v29, v29, v16, -v165
	v_add_f16_e32 v52, v26, v30
	v_add_f16_e64 v121, v166, v168
	v_fmac_f16_e32 v54, v122, v15
	v_fmac_f16_e64 v167, v158, v16
	v_sub_f16_e64 v53, v162, v164
	v_add_f16_e64 v140, v159, v166
	v_sub_f16_e64 v161, v166, v168
	v_add_f16_e32 v122, v9, v11
	v_add_f16_e64 v162, v172, v178
	v_add_f16_e64 v163, v50, v172
	v_sub_f16_e64 v165, v172, v178
	v_add_f16_e64 v166, v8, v10
	v_add_f16_e64 v169, v17, v8
	;; [unrolled: 1-line block ×4, first 2 shown]
	v_sub_f16_e32 v20, v20, v24
	v_add_f16_e32 v116, v32, v26
	v_sub_f16_e32 v26, v26, v30
	v_add_f16_e64 v158, v18, v9
	v_fmac_f16_e32 v22, -0.5, v23
	v_fmac_f16_e32 v117, -0.5, v48
	v_add_f16_e32 v23, v1, v19
	v_add_f16_e32 v48, v21, v1
	v_add_f16_e64 v173, v120, v179
	v_add_f16_e64 v174, v179, v180
	v_add_f16_e32 v24, v47, v24
	v_add_f16_e64 v47, v49, v164
	v_fmac_f16_e32 v32, -0.5, v52
	v_fmac_f16_e64 v159, -0.5, v121
	v_add_f16_e32 v49, v25, v29
	v_add_f16_e32 v52, v31, v25
	v_add_f16_e64 v121, v160, v54
	v_add_f16_e64 v164, v54, v167
	v_sub_f16_e32 v9, v9, v11
	v_sub_f16_e64 v171, v171, v175
	v_sub_f16_e32 v8, v8, v10
	v_fmac_f16_e32 v18, -0.5, v122
	v_fmac_f16_e64 v50, -0.5, v162
	v_fma_f16 v17, -0.5, v166, v17
	v_add_f16_e64 v122, v170, v175
	v_add_f16_e64 v10, v169, v10
	v_fmac_f16_e64 v51, -0.5, v172
	v_sub_f16_e64 v179, v179, v180
	v_sub_f16_e32 v1, v1, v19
	v_sub_f16_e32 v25, v25, v29
	v_sub_f16_e64 v54, v54, v167
	v_add_f16_e32 v30, v116, v30
	v_add_f16_e64 v116, v140, v168
	v_add_f16_e64 v11, v158, v11
	;; [unrolled: 1-line block ×3, first 2 shown]
	v_fma_f16 v158, 0x3aee, v53, v22
	v_fmac_f16_e32 v22, 0xbaee, v53
	v_fmamk_f16 v53, v20, 0xbaee, v117
	v_fmac_f16_e32 v117, 0x3aee, v20
	v_fma_f16 v20, -0.5, v23, v21
	v_add_f16_e64 v21, v173, v180
	v_add_f16_e32 v19, v48, v19
	v_fmac_f16_e64 v120, -0.5, v174
	v_pack_b32_f16 v23, v24, v47
	v_fma_f16 v47, 0xbaee, v26, v159
	v_fmac_f16_e64 v159, 0x3aee, v26
	v_fma_f16 v26, -0.5, v49, v31
	v_add_f16_e32 v29, v52, v29
	v_add_f16_e64 v31, v121, v167
	v_fmac_f16_e64 v160, -0.5, v164
	v_fmamk_f16 v49, v9, 0xbaee, v50
	v_fmac_f16_e32 v50, 0x3aee, v9
	v_pack_b32_f16 v9, v10, v122
	v_fma_f16 v10, 0x3aee, v171, v17
	v_fmamk_f16 v52, v8, 0xbaee, v51
	v_fmac_f16_e64 v17, 0xbaee, v171
	v_fmac_f16_e32 v51, 0x3aee, v8
	v_fma_f16 v48, 0x3aee, v165, v18
	v_fmac_f16_e64 v18, 0xbaee, v165
	v_fma_f16 v24, 0x3aee, v161, v32
	v_fmac_f16_e64 v32, 0xbaee, v161
	v_pack_b32_f16 v8, v11, v140
	v_pack_b32_f16 v11, v22, v117
	;; [unrolled: 1-line block ×3, first 2 shown]
	v_fma_f16 v21, 0x3aee, v179, v20
	v_fmamk_f16 v22, v1, 0xbaee, v120
	v_fmac_f16_e32 v120, 0x3aee, v1
	v_pack_b32_f16 v1, v158, v53
	v_pack_b32_f16 v29, v29, v31
	v_fmamk_f16 v31, v54, 0x3aee, v26
	v_fma_f16 v53, 0xbaee, v25, v160
	v_fmac_f16_e32 v26, 0xbaee, v54
	v_fmac_f16_e64 v160, 0x3aee, v25
	v_fmac_f16_e64 v20, 0xbaee, v179
	v_pack_b32_f16 v10, v10, v52
	v_pack_b32_f16 v17, v17, v51
	;; [unrolled: 1-line block ×11, first 2 shown]
	ds_store_2addr_b32 v154, v9, v10 offset1:16
	ds_store_b32 v154, v17 offset:128
	ds_store_2addr_b32 v151, v8, v25 offset1:16
	ds_store_b32 v151, v18 offset:128
	;; [unrolled: 2-line block ×6, first 2 shown]
	global_wb scope:SCOPE_SE
	s_wait_dscnt 0x0
	s_barrier_signal -1
	s_barrier_wait -1
	global_inv scope:SCOPE_SE
	s_clause 0x1
	global_load_b64 v[31:32], v[13:14], off offset:184
	global_load_b64 v[25:26], v43, s[10:11] offset:184
	v_add_co_u32 v8, s2, s10, v46
	s_wait_alu 0xf1ff
	v_add_co_ci_u32_e64 v9, null, s11, 0, s2
	s_clause 0x3
	global_load_b64 v[23:24], v44, s[10:11] offset:184
	global_load_b64 v[21:22], v45, s[10:11] offset:184
	global_load_b64 v[19:20], v[27:28], off offset:184
	global_load_b64 v[17:18], v[8:9], off offset:184
	s_wait_alu 0xfffd
	v_cndmask_b32_e64 v8, 0, 0x90, vcc_lo
	v_and_b32_e32 v9, 0xffff, v33
	v_and_b32_e32 v11, 0xffff, v34
	;; [unrolled: 1-line block ×3, first 2 shown]
	v_mad_u16 v27, 0x90, v36, v38
	v_add_lshl_u32 v140, v0, v8, 2
	v_mul_u32_u24_e32 v0, 0x90, v9
	v_mul_u32_u24_e32 v29, 0x90, v11
	;; [unrolled: 1-line block ×3, first 2 shown]
	ds_load_2addr_b32 v[8:9], v6 offset0:80 offset1:136
	ds_load_2addr_b32 v[10:11], v4 offset0:160 offset1:216
	v_add_lshl_u32 v121, v0, v40, 2
	v_and_b32_e32 v0, 0xffff, v27
	ds_load_2addr_b32 v[27:28], v6 offset0:192 offset1:248
	v_add_lshl_u32 v116, v29, v42, 2
	ds_load_2addr_b32 v[29:30], v5 offset0:16 offset1:72
	v_mad_u16 v33, 0x90, v37, v39
	v_add_lshl_u32 v122, v13, v41, 2
	ds_load_2addr_b32 v[13:14], v67 offset1:56
	ds_load_2addr_b32 v[34:35], v67 offset0:112 offset1:168
	ds_load_2addr_b32 v[39:40], v4 offset0:48 offset1:104
	;; [unrolled: 1-line block ×4, first 2 shown]
	v_and_b32_e32 v33, 0xffff, v33
	v_lshlrev_b32_e32 v117, 2, v0
	v_add_nc_u32_e32 v1, 0xa00, v67
	global_wb scope:SCOPE_SE
	s_wait_loadcnt_dscnt 0x0
	s_barrier_signal -1
	v_lshlrev_b32_e32 v120, 2, v33
	s_barrier_wait -1
	global_inv scope:SCOPE_SE
	v_lshrrev_b32_e32 v0, 16, v8
	v_lshrrev_b32_e32 v7, 16, v9
	;; [unrolled: 1-line block ×8, first 2 shown]
	s_load_b64 s[2:3], s[0:1], 0x38
	v_lshrrev_b32_e32 v51, 16, v39
	v_lshrrev_b32_e32 v52, 16, v41
	;; [unrolled: 1-line block ×10, first 2 shown]
	v_cmp_gt_u16_e32 vcc_lo, 32, v2
	v_lshrrev_b32_e32 v181, 16, v31
	v_lshrrev_b32_e32 v179, 16, v25
	;; [unrolled: 1-line block ×12, first 2 shown]
	v_mul_f16_e64 v158, v0, v181
	v_mul_f16_e64 v159, v7, v179
	;; [unrolled: 1-line block ×24, first 2 shown]
	v_fma_f16 v8, v8, v31, -v158
	v_fma_f16 v9, v9, v25, -v159
	;; [unrolled: 1-line block ×4, first 2 shown]
	v_fmac_f16_e64 v160, v0, v31
	v_fmac_f16_e64 v164, v33, v32
	;; [unrolled: 1-line block ×4, first 2 shown]
	v_fma_f16 v0, v27, v23, -v166
	v_fma_f16 v7, v28, v21, -v167
	;; [unrolled: 1-line block ×4, first 2 shown]
	v_fmac_f16_e64 v186, v46, v21
	v_fmac_f16_e64 v191, v48, v22
	;; [unrolled: 1-line block ×6, first 2 shown]
	v_fma_f16 v29, v39, v19, -v195
	v_fma_f16 v30, v41, v20, -v196
	;; [unrolled: 1-line block ×4, first 2 shown]
	v_fmac_f16_e64 v198, v53, v17
	v_fmac_f16_e64 v200, v54, v18
	v_add_f16_e32 v39, v9, v11
	v_add_f16_e64 v41, v161, v165
	v_add_f16_e32 v46, v8, v10
	v_add_f16_e32 v47, v13, v8
	v_add_f16_e64 v48, v44, v160
	v_add_f16_e64 v51, v160, v164
	v_add_f16_e32 v40, v14, v9
	v_add_f16_e64 v42, v43, v161
	v_sub_f16_e64 v45, v161, v165
	v_sub_f16_e64 v52, v160, v164
	v_add_f16_e32 v53, v7, v28
	v_add_f16_e32 v54, v35, v7
	v_add_f16_e64 v158, v186, v191
	v_add_f16_e64 v159, v49, v186
	v_sub_f16_e64 v160, v186, v191
	v_add_f16_e64 v161, v0, v27
	v_add_f16_e64 v162, v34, v0
	;; [unrolled: 1-line block ×4, first 2 shown]
	v_sub_f16_e64 v167, v185, v192
	v_add_f16_e64 v185, v187, v193
	v_sub_f16_e64 v186, v193, v194
	v_add_f16_e64 v189, v193, v194
	v_add_f16_e64 v190, v37, v29
	;; [unrolled: 1-line block ×3, first 2 shown]
	v_sub_f16_e32 v9, v9, v11
	v_sub_f16_e32 v8, v8, v10
	v_add_f16_e64 v195, v38, v33
	v_add_f16_e64 v196, v33, v36
	v_add_f16_e64 v201, v198, v200
	v_fmac_f16_e32 v14, -0.5, v39
	v_fmac_f16_e32 v43, -0.5, v41
	v_fma_f16 v13, -0.5, v46, v13
	v_add_f16_e32 v10, v47, v10
	v_add_f16_e64 v39, v48, v164
	v_fmac_f16_e32 v44, -0.5, v51
	v_sub_f16_e32 v7, v7, v28
	v_sub_f16_e32 v0, v0, v27
	;; [unrolled: 1-line block ×3, first 2 shown]
	v_sub_f16_e64 v197, v33, v36
	v_add_f16_e32 v11, v40, v11
	v_add_f16_e64 v40, v42, v165
	v_fmac_f16_e32 v35, -0.5, v53
	v_fmac_f16_e64 v49, -0.5, v158
	v_fma_f16 v41, -0.5, v161, v34
	v_add_f16_e64 v27, v162, v27
	v_add_f16_e64 v42, v163, v192
	v_fmac_f16_e64 v50, -0.5, v166
	v_add_f16_e32 v28, v54, v28
	v_add_f16_e64 v46, v159, v191
	v_add_f16_e64 v47, v185, v194
	;; [unrolled: 1-line block ×3, first 2 shown]
	v_fmac_f16_e64 v187, -0.5, v189
	v_fma_f16 v33, -0.5, v193, v37
	v_add_f16_e64 v199, v188, v198
	v_sub_f16_e64 v198, v198, v200
	v_add_f16_e64 v34, v195, v36
	v_fmac_f16_e64 v38, -0.5, v196
	v_fmac_f16_e64 v188, -0.5, v201
	v_fmamk_f16 v36, v45, 0x3aee, v14
	v_fmac_f16_e32 v14, 0xbaee, v45
	v_fmamk_f16 v45, v9, 0xbaee, v43
	v_fmac_f16_e32 v43, 0x3aee, v9
	v_pack_b32_f16 v9, v10, v39
	v_fmamk_f16 v10, v52, 0x3aee, v13
	v_fmamk_f16 v39, v8, 0xbaee, v44
	v_fmac_f16_e32 v13, 0xbaee, v52
	v_fmac_f16_e32 v44, 0x3aee, v8
	v_pack_b32_f16 v8, v11, v40
	v_fma_f16 v11, 0x3aee, v160, v35
	v_fmamk_f16 v40, v7, 0xbaee, v49
	v_fmac_f16_e32 v49, 0x3aee, v7
	v_pack_b32_f16 v7, v27, v42
	v_fma_f16 v27, 0x3aee, v167, v41
	v_fmamk_f16 v42, v0, 0xbaee, v50
	v_fmac_f16_e64 v41, 0xbaee, v167
	v_fmac_f16_e32 v50, 0x3aee, v0
	v_pack_b32_f16 v0, v28, v46
	v_pack_b32_f16 v28, v30, v47
	v_fma_f16 v30, 0x3aee, v186, v33
	v_fma_f16 v46, 0xbaee, v29, v187
	v_fmac_f16_e64 v33, 0xbaee, v186
	v_fmac_f16_e64 v187, 0x3aee, v29
	v_add_f16_e64 v189, v199, v200
	v_fmac_f16_e64 v35, 0xbaee, v160
	v_fma_f16 v37, 0x3aee, v198, v38
	v_fma_f16 v190, 0xbaee, v197, v188
	v_fmac_f16_e64 v38, 0xbaee, v198
	v_fmac_f16_e64 v188, 0x3aee, v197
	v_pack_b32_f16 v10, v10, v39
	v_pack_b32_f16 v13, v13, v44
	;; [unrolled: 1-line block ×13, first 2 shown]
	ds_store_2addr_b32 v140, v9, v10 offset1:48
	ds_store_b32 v140, v13 offset:384
	ds_store_2addr_b32 v121, v8, v36 offset1:48
	ds_store_b32 v121, v14 offset:384
	;; [unrolled: 2-line block ×6, first 2 shown]
	global_wb scope:SCOPE_SE
	s_wait_dscnt 0x0
	s_wait_kmcnt 0x0
	s_barrier_signal -1
	s_barrier_wait -1
	global_inv scope:SCOPE_SE
	ds_load_2addr_b32 v[49:50], v6 offset0:32 offset1:88
	ds_load_2addr_b32 v[47:48], v6 offset0:176 offset1:232
	;; [unrolled: 1-line block ×4, first 2 shown]
	ds_load_2addr_b32 v[39:40], v67 offset1:56
	ds_load_2addr_b32 v[53:54], v67 offset0:144 offset1:200
	ds_load_2addr_b32 v[51:52], v1 offset0:80 offset1:136
	v_add_co_u32 v35, s0, s8, v67
	s_wait_alu 0xf1ff
	v_add_co_ci_u32_e64 v36, null, s9, 0, s0
                                        ; implicit-def: $vgpr192
                                        ; implicit-def: $vgpr191
                                        ; implicit-def: $vgpr194
                                        ; implicit-def: $vgpr193
                                        ; implicit-def: $vgpr42
	s_and_saveexec_b32 s0, vcc_lo
	s_cbranch_execz .LBB0_3
; %bb.2:
	v_add_nc_u32_e32 v0, 0x100, v67
	v_add_nc_u32_e32 v2, 0x600, v67
	ds_load_2addr_b32 v[41:42], v1 offset0:48 offset1:192
	ds_load_2addr_b32 v[33:34], v0 offset0:48 offset1:192
	;; [unrolled: 1-line block ×3, first 2 shown]
	ds_load_b32 v191, v67 offset:3904
	s_wait_dscnt 0x3
	v_lshrrev_b32_e32 v193, 16, v41
	v_lshrrev_b32_e32 v192, 16, v42
	s_wait_dscnt 0x2
	v_lshrrev_b32_e32 v187, 16, v33
	v_lshrrev_b32_e32 v189, 16, v34
	;; [unrolled: 3-line block ×3, first 2 shown]
	s_wait_dscnt 0x0
	v_lshrrev_b32_e32 v194, 16, v191
.LBB0_3:
	s_wait_alu 0xfffe
	s_or_b32 exec_lo, exec_lo, s0
	v_mad_co_u64_u32 v[0:1], null, v84, 24, s[10:11]
	v_lshlrev_b32_e32 v186, 2, v156
	s_wait_dscnt 0x1
	v_lshrrev_b32_e32 v196, 16, v53
	v_lshrrev_b32_e32 v197, 16, v49
	;; [unrolled: 1-line block ×4, first 2 shown]
	s_wait_dscnt 0x0
	v_lshrrev_b32_e32 v200, 16, v51
	s_clause 0x3
	global_load_b128 v[8:11], v[0:1], off offset:568
	global_load_b64 v[27:28], v[0:1], off offset:584
	global_load_b128 v[4:7], v[0:1], off offset:1912
	global_load_b64 v[29:30], v[0:1], off offset:1928
	v_subrev_nc_u32_e32 v0, 32, v84
	v_lshrrev_b32_e32 v201, 16, v43
	v_lshrrev_b32_e32 v203, 16, v54
	;; [unrolled: 1-line block ×3, first 2 shown]
	s_delay_alu instid0(VALU_DEP_4)
	v_dual_cndmask_b32 v0, v0, v3 :: v_dual_lshlrev_b32 v185, 2, v157
	v_lshrrev_b32_e32 v205, 16, v48
	v_lshrrev_b32_e32 v206, 16, v46
	;; [unrolled: 1-line block ×4, first 2 shown]
	v_mul_i32_i24_e32 v1, 24, v0
	v_mul_hi_i32_i24_e32 v0, 24, v0
	v_lshrrev_b32_e32 v195, 16, v39
	v_lshrrev_b32_e32 v202, 16, v40
	s_delay_alu instid0(VALU_DEP_4)
	v_add_co_u32 v13, s0, s10, v1
	s_wait_alu 0xf1ff
	v_add_co_ci_u32_e64 v14, s0, s11, v0, s0
	s_clause 0x1
	global_load_b128 v[0:3], v[13:14], off offset:568
	global_load_b64 v[13:14], v[13:14], off offset:584
	s_wait_loadcnt 0x5
	v_lshrrev_b32_e32 v167, 16, v8
	v_lshrrev_b32_e32 v166, 16, v9
	v_lshrrev_b32_e32 v165, 16, v10
	v_lshrrev_b32_e32 v164, 16, v11
	s_wait_loadcnt 0x4
	v_lshrrev_b32_e32 v163, 16, v27
	v_lshrrev_b32_e32 v162, 16, v28
	s_wait_loadcnt 0x3
	v_lshrrev_b32_e32 v161, 16, v4
	v_lshrrev_b32_e32 v160, 16, v5
	;; [unrolled: 1-line block ×4, first 2 shown]
	s_wait_loadcnt 0x2
	v_lshrrev_b32_e32 v157, 16, v29
	v_lshrrev_b32_e32 v156, 16, v30
	v_mul_f16_e64 v209, v196, v167
	v_mul_f16_e64 v210, v53, v167
	;; [unrolled: 1-line block ×24, first 2 shown]
	v_fma_f16 v53, v53, v8, -v209
	v_fmac_f16_e64 v210, v196, v8
	v_fma_f16 v49, v49, v9, -v211
	v_fmac_f16_e64 v212, v197, v9
	;; [unrolled: 2-line block ×12, first 2 shown]
	s_wait_loadcnt 0x1
	v_lshrrev_b32_e32 v47, 16, v0
	v_lshrrev_b32_e32 v45, 16, v1
	;; [unrolled: 1-line block ×3, first 2 shown]
	s_wait_loadcnt 0x0
	v_lshrrev_b32_e32 v46, 16, v13
	v_lshrrev_b32_e32 v48, 16, v14
	;; [unrolled: 1-line block ×3, first 2 shown]
	v_add_f16_e64 v203, v53, v198
	v_add_f16_e64 v204, v210, v220
	v_sub_f16_e64 v53, v53, v198
	v_sub_f16_e64 v198, v210, v220
	v_add_f16_e64 v205, v49, v51
	v_add_f16_e64 v206, v212, v218
	v_sub_f16_e32 v49, v49, v51
	v_sub_f16_e64 v51, v212, v218
	v_add_f16_e64 v207, v196, v197
	v_add_f16_e64 v208, v214, v216
	v_sub_f16_e64 v196, v197, v196
	v_sub_f16_e64 v197, v216, v214
	v_add_f16_e64 v209, v54, v201
	v_add_f16_e64 v210, v222, v232
	v_add_f16_e64 v211, v50, v52
	v_add_f16_e64 v212, v224, v230
	v_sub_f16_e32 v50, v50, v52
	v_sub_f16_e64 v52, v224, v230
	v_add_f16_e64 v213, v199, v200
	v_add_f16_e64 v214, v226, v228
	v_sub_f16_e64 v199, v200, v199
	v_sub_f16_e64 v200, v228, v226
	v_mul_f16_e64 v215, v189, v47
	v_mul_f16_e64 v216, v34, v47
	;; [unrolled: 1-line block ×9, first 2 shown]
	v_sub_f16_e64 v54, v54, v201
	v_sub_f16_e64 v201, v222, v232
	v_mul_f16_e64 v219, v188, v43
	v_mul_f16_e64 v221, v193, v44
	;; [unrolled: 1-line block ×3, first 2 shown]
	v_add_f16_e64 v227, v205, v203
	v_add_f16_e64 v228, v206, v204
	v_sub_f16_e64 v229, v205, v203
	v_sub_f16_e64 v230, v206, v204
	v_sub_f16_e64 v203, v203, v207
	v_sub_f16_e64 v204, v204, v208
	v_add_f16_e64 v231, v196, v49
	v_add_f16_e64 v232, v197, v51
	v_sub_f16_e64 v233, v196, v49
	v_sub_f16_e64 v234, v197, v51
	v_sub_f16_e32 v49, v49, v53
	v_sub_f16_e64 v51, v51, v198
	v_add_f16_e64 v235, v211, v209
	v_add_f16_e64 v236, v212, v210
	v_sub_f16_e64 v237, v211, v209
	v_sub_f16_e64 v238, v212, v210
	;; [unrolled: 1-line block ×6, first 2 shown]
	v_fma_f16 v34, v34, v0, -v215
	v_fmac_f16_e64 v216, v189, v0
	v_fma_f16 v37, v37, v1, -v217
	v_fmac_f16_e64 v218, v190, v1
	v_fmac_f16_e64 v220, v188, v2
	v_fma_f16 v42, v42, v13, -v223
	v_fmac_f16_e64 v224, v192, v13
	v_fma_f16 v188, v191, v14, -v225
	v_fmac_f16_e64 v226, v194, v14
	v_sub_f16_e64 v205, v207, v205
	v_sub_f16_e64 v206, v208, v206
	;; [unrolled: 1-line block ×6, first 2 shown]
	v_add_f16_e64 v239, v199, v50
	v_add_f16_e64 v240, v200, v52
	v_sub_f16_e32 v50, v50, v54
	v_sub_f16_e64 v52, v52, v201
	v_fma_f16 v38, v38, v2, -v219
	v_fma_f16 v41, v41, v3, -v221
	v_fmac_f16_e64 v222, v193, v3
	v_add_f16_e64 v189, v207, v227
	v_add_f16_e64 v190, v208, v228
	v_mul_f16_e64 v192, 0x3a52, v203
	v_mul_f16_e64 v193, 0x3a52, v204
	;; [unrolled: 1-line block ×6, first 2 shown]
	v_add_f16_e64 v213, v213, v235
	v_add_f16_e64 v214, v214, v236
	v_mul_f16_e64 v215, 0x2b26, v211
	v_mul_f16_e64 v217, 0x2b26, v212
	;; [unrolled: 1-line block ×4, first 2 shown]
	v_add_f16_e64 v227, v34, v188
	v_add_f16_e64 v228, v216, v226
	v_sub_f16_e64 v34, v34, v188
	v_sub_f16_e64 v188, v216, v226
	v_add_f16_e64 v216, v37, v42
	v_add_f16_e64 v226, v218, v224
	v_sub_f16_e64 v199, v54, v199
	v_sub_f16_e64 v200, v201, v200
	v_add_f16_e64 v53, v231, v53
	v_add_f16_e64 v191, v232, v198
	v_mul_f16_e64 v194, 0x2b26, v205
	v_mul_f16_e64 v198, 0x2b26, v206
	;; [unrolled: 1-line block ×6, first 2 shown]
	v_sub_f16_e32 v37, v37, v42
	v_sub_f16_e64 v42, v218, v224
	v_add_f16_e64 v218, v38, v41
	v_add_f16_e64 v224, v220, v222
	v_sub_f16_e32 v38, v41, v38
	v_sub_f16_e64 v41, v222, v220
	v_add_f16_e64 v39, v39, v189
	v_add_f16_e64 v195, v195, v190
	v_fma_f16 v220, 0x3574, v196, v203
	v_fma_f16 v222, 0x3574, v197, v204
	v_fma_f16 v203, v49, 0x3b00, -v203
	v_fma_f16 v204, v51, 0x3b00, -v204
	;; [unrolled: 1-line block ×4, first 2 shown]
	v_add_f16_e64 v40, v40, v213
	v_add_f16_e64 v49, v202, v214
	v_fma_f16 v207, v237, 0x39e0, -v215
	v_fma_f16 v208, v238, 0x39e0, -v217
	;; [unrolled: 1-line block ×4, first 2 shown]
	v_add_f16_e64 v50, v216, v227
	v_add_f16_e64 v52, v226, v228
	;; [unrolled: 1-line block ×4, first 2 shown]
	v_fma_f16 v205, 0x2b26, v205, v192
	v_fma_f16 v206, 0x2b26, v206, v193
	v_fma_f16 v194, v229, 0x39e0, -v194
	v_fma_f16 v198, v230, 0x39e0, -v198
	;; [unrolled: 1-line block ×4, first 2 shown]
	v_fma_f16 v51, 0x2b26, v211, v209
	v_fma_f16 v202, 0x2b26, v212, v210
	v_fma_f16 v209, v237, 0xb9e0, -v209
	v_fma_f16 v210, v238, 0xb9e0, -v210
	v_fma_f16 v211, 0x3574, v199, v219
	v_fma_f16 v212, 0x3574, v200, v221
	v_fma_f16 v199, v199, 0xb574, -v223
	v_fma_f16 v200, v200, 0xb574, -v225
	v_sub_f16_e64 v219, v216, v227
	v_sub_f16_e64 v221, v226, v228
	;; [unrolled: 1-line block ×6, first 2 shown]
	v_add_f16_e64 v227, v38, v37
	v_add_f16_e64 v228, v41, v42
	v_sub_f16_e64 v229, v38, v37
	v_sub_f16_e64 v230, v41, v42
	;; [unrolled: 1-line block ×5, first 2 shown]
	v_fma_f16 v37, 0xbcab, v189, v39
	v_fma_f16 v38, 0xbcab, v190, v195
	v_fmac_f16_e64 v220, 0x370e, v53
	v_fmac_f16_e64 v222, 0x370e, v191
	;; [unrolled: 1-line block ×6, first 2 shown]
	v_fma_f16 v53, 0xbcab, v213, v40
	v_fma_f16 v189, 0xbcab, v214, v49
	v_add_f16_e64 v190, v218, v50
	v_add_f16_e64 v191, v224, v52
	v_sub_f16_e64 v41, v188, v41
	v_fmac_f16_e64 v211, 0x370e, v54
	v_fmac_f16_e64 v212, 0x370e, v201
	;; [unrolled: 1-line block ×6, first 2 shown]
	v_pack_b32_f16 v39, v39, v195
	v_pack_b32_f16 v40, v40, v49
	v_mul_f16_e64 v49, 0x3a52, v223
	v_mul_f16_e64 v50, 0x3a52, v225
	;; [unrolled: 1-line block ×8, first 2 shown]
	v_add_f16_e64 v205, v205, v37
	v_add_f16_e64 v206, v206, v38
	;; [unrolled: 1-line block ×16, first 2 shown]
	v_fma_f16 v33, 0x2b26, v216, v49
	v_fma_f16 v187, 0x2b26, v226, v50
	v_fma_f16 v210, v219, 0x39e0, -v52
	v_fma_f16 v216, v221, 0x39e0, -v54
	;; [unrolled: 1-line block ×4, first 2 shown]
	v_fma_f16 v50, 0x3574, v231, v195
	v_fma_f16 v51, 0x3574, v41, v201
	v_fma_f16 v54, v232, 0x3b00, -v195
	v_fma_f16 v49, v42, 0x3b00, -v201
	;; [unrolled: 1-line block ×4, first 2 shown]
	v_add_f16_e64 v41, v222, v205
	v_sub_f16_e64 v42, v206, v220
	v_add_f16_e64 v195, v197, v192
	v_sub_f16_e64 v201, v193, v196
	v_sub_f16_e64 v192, v192, v197
	v_add_f16_e64 v193, v196, v193
	v_sub_f16_e64 v196, v205, v222
	v_add_f16_e64 v197, v220, v206
	v_add_f16_e64 v205, v200, v209
	v_sub_f16_e64 v206, v189, v199
	v_sub_f16_e64 v200, v209, v200
	v_add_f16_e64 v189, v199, v189
	v_fma_f16 v190, 0xbcab, v190, v37
	v_fma_f16 v191, 0xbcab, v191, v38
	v_sub_f16_e64 v213, v194, v204
	v_add_f16_e64 v214, v203, v198
	v_add_f16_e64 v194, v204, v194
	v_sub_f16_e64 v198, v198, v203
	v_add_f16_e64 v203, v212, v218
	v_sub_f16_e64 v204, v202, v211
	v_fmac_f16_e32 v50, 0x370e, v34
	v_fmac_f16_e64 v51, 0x370e, v188
	v_fmac_f16_e32 v54, 0x370e, v34
	v_fmac_f16_e64 v49, 0x370e, v188
	;; [unrolled: 2-line block ×3, first 2 shown]
	v_pack_b32_f16 v34, v41, v42
	v_pack_b32_f16 v193, v192, v193
	;; [unrolled: 1-line block ×3, first 2 shown]
	v_add_f16_e64 v188, v33, v190
	v_add_f16_e64 v189, v187, v191
	;; [unrolled: 1-line block ×6, first 2 shown]
	v_sub_f16_e64 v220, v207, v217
	v_add_f16_e64 v222, v215, v208
	v_pack_b32_f16 v41, v195, v201
	v_add_f16_e64 v207, v217, v207
	v_sub_f16_e64 v208, v208, v215
	v_pack_b32_f16 v42, v213, v214
	v_pack_b32_f16 v194, v194, v198
	v_sub_f16_e64 v199, v218, v212
	v_add_f16_e64 v202, v211, v202
	v_pack_b32_f16 v195, v196, v197
	v_pack_b32_f16 v196, v203, v204
	;; [unrolled: 1-line block ×3, first 2 shown]
	ds_store_b32 v67, v34 offset:576
	ds_store_b32 v67, v41 offset:1152
	;; [unrolled: 1-line block ×6, first 2 shown]
	ds_store_2addr_b32 v67, v39, v40 offset1:56
	ds_store_b32 v67, v196 offset:800
	v_add_f16_e64 v33, v49, v187
	v_sub_f16_e64 v39, v192, v54
	v_sub_f16_e64 v34, v190, v53
	v_add_f16_e64 v40, v52, v191
	v_sub_f16_e64 v41, v188, v51
	v_add_f16_e64 v42, v50, v189
	v_pack_b32_f16 v198, v220, v222
	v_pack_b32_f16 v201, v207, v208
	;; [unrolled: 1-line block ×3, first 2 shown]
	ds_store_b32 v67, v197 offset:1376
	ds_store_b32 v67, v198 offset:1952
	;; [unrolled: 1-line block ×5, first 2 shown]
	s_and_saveexec_b32 s0, vcc_lo
	s_cbranch_execz .LBB0_5
; %bb.4:
	v_sub_f16_e64 v50, v189, v50
	v_add_f16_e64 v51, v51, v188
	v_add_f16_e64 v54, v54, v192
	v_sub_f16_e64 v52, v191, v52
	v_add_f16_e64 v53, v53, v190
	v_sub_f16_e64 v49, v187, v49
	v_perm_b32 v37, v38, v37, 0x5040100
	v_pack_b32_f16 v38, v51, v50
	v_add_nc_u32_e32 v50, 0x100, v67
	v_pack_b32_f16 v51, v53, v52
	v_pack_b32_f16 v49, v49, v54
	v_add_nc_u32_e32 v52, 0x600, v67
	v_perm_b32 v53, v39, v33, 0x5040100
	v_perm_b32 v54, v40, v34, 0x5040100
	v_add_nc_u32_e32 v187, 0xa00, v67
	v_perm_b32 v188, v42, v41, 0x5040100
	ds_store_2addr_b32 v50, v37, v38 offset0:48 offset1:192
	ds_store_2addr_b32 v52, v51, v49 offset0:16 offset1:160
	;; [unrolled: 1-line block ×3, first 2 shown]
	ds_store_b32 v67, v188 offset:3904
.LBB0_5:
	s_wait_alu 0xfffe
	s_or_b32 exec_lo, exec_lo, s0
	global_wb scope:SCOPE_SE
	s_wait_dscnt 0x0
	s_barrier_signal -1
	s_barrier_wait -1
	global_inv scope:SCOPE_SE
	global_load_b32 v37, v[35:36], off offset:4032
	v_lshlrev_b32_e32 v38, 2, v84
	s_add_nc_u64 s[0:1], s[8:9], 0xfc0
	s_clause 0x6
	global_load_b32 v49, v38, s[0:1] offset:224
	global_load_b32 v50, v38, s[0:1] offset:448
	;; [unrolled: 1-line block ×7, first 2 shown]
	ds_load_2addr_b32 v[35:36], v67 offset1:56
	s_wait_dscnt 0x0
	v_lshrrev_b32_e32 v189, 16, v35
	s_wait_loadcnt 0x7
	v_lshrrev_b32_e32 v188, 16, v37
	s_delay_alu instid0(VALU_DEP_1) | instskip(NEXT) | instid1(VALU_DEP_3)
	v_mul_f16_e64 v190, v35, v188
	v_mul_f16_e64 v188, v189, v188
	s_delay_alu instid0(VALU_DEP_2) | instskip(NEXT) | instid1(VALU_DEP_2)
	v_fmac_f16_e64 v190, v189, v37
	v_fma_f16 v35, v35, v37, -v188
	v_lshrrev_b32_e32 v37, 16, v36
	s_wait_loadcnt 0x6
	v_lshrrev_b32_e32 v188, 16, v49
	s_delay_alu instid0(VALU_DEP_3) | instskip(NEXT) | instid1(VALU_DEP_2)
	v_pack_b32_f16 v35, v35, v190
	v_mul_f16_e64 v189, v37, v188
	v_mul_f16_e64 v188, v36, v188
	ds_store_b32 v67, v35
	v_fma_f16 v189, v36, v49, -v189
	v_fmac_f16_e64 v188, v37, v49
	s_clause 0x5
	global_load_b32 v37, v38, s[0:1] offset:2240
	global_load_b32 v190, v38, s[0:1] offset:2464
	;; [unrolled: 1-line block ×6, first 2 shown]
	v_add_nc_u32_e32 v49, 0x800, v67
	global_load_b32 v195, v38, s[0:1] offset:2016
	ds_load_2addr_b32 v[35:36], v49 offset0:48 offset1:104
	s_wait_dscnt 0x0
	v_lshrrev_b32_e32 v197, 16, v35
	s_wait_loadcnt 0x6
	v_lshrrev_b32_e32 v196, 16, v37
	s_delay_alu instid0(VALU_DEP_1) | instskip(NEXT) | instid1(VALU_DEP_3)
	v_mul_f16_e64 v198, v35, v196
	v_mul_f16_e64 v196, v197, v196
	s_delay_alu instid0(VALU_DEP_2) | instskip(NEXT) | instid1(VALU_DEP_2)
	v_fmac_f16_e64 v198, v197, v37
	v_fma_f16 v196, v35, v37, -v196
	s_wait_loadcnt 0x5
	v_lshrrev_b32_e32 v35, 16, v190
	v_lshrrev_b32_e32 v37, 16, v36
	s_delay_alu instid0(VALU_DEP_2) | instskip(NEXT) | instid1(VALU_DEP_2)
	v_mul_f16_e64 v199, v36, v35
	v_mul_f16_e64 v197, v37, v35
	s_delay_alu instid0(VALU_DEP_2) | instskip(NEXT) | instid1(VALU_DEP_2)
	v_fmac_f16_e64 v199, v37, v190
	v_fma_f16 v197, v36, v190, -v197
	ds_load_2addr_b32 v[35:36], v67 offset0:112 offset1:168
	v_lshrrev_b32_e32 v37, 16, v50
	s_wait_dscnt 0x0
	v_lshrrev_b32_e32 v190, 16, v35
	s_delay_alu instid0(VALU_DEP_2) | instskip(NEXT) | instid1(VALU_DEP_2)
	v_mul_f16_e64 v200, v35, v37
	v_mul_f16_e64 v37, v190, v37
	s_delay_alu instid0(VALU_DEP_2) | instskip(NEXT) | instid1(VALU_DEP_2)
	v_fmac_f16_e64 v200, v190, v50
	v_fma_f16 v190, v35, v50, -v37
	v_lshrrev_b32_e32 v35, 16, v51
	v_lshrrev_b32_e32 v37, 16, v36
	s_delay_alu instid0(VALU_DEP_2) | instskip(NEXT) | instid1(VALU_DEP_2)
	v_mul_f16_e64 v201, v36, v35
	v_mul_f16_e32 v50, v37, v35
	s_delay_alu instid0(VALU_DEP_2) | instskip(NEXT) | instid1(VALU_DEP_2)
	v_fmac_f16_e64 v201, v37, v51
	v_fma_f16 v202, v36, v51, -v50
	ds_load_2addr_b32 v[35:36], v49 offset0:160 offset1:216
	s_wait_loadcnt 0x4
	v_lshrrev_b32_e32 v37, 16, v191
	s_wait_dscnt 0x0
	v_lshrrev_b32_e32 v50, 16, v35
	s_delay_alu instid0(VALU_DEP_2) | instskip(NEXT) | instid1(VALU_DEP_2)
	v_mul_f16_e64 v203, v35, v37
	v_mul_f16_e32 v37, v50, v37
	s_delay_alu instid0(VALU_DEP_2) | instskip(NEXT) | instid1(VALU_DEP_2)
	v_fmac_f16_e64 v203, v50, v191
	v_fma_f16 v191, v35, v191, -v37
	s_wait_loadcnt 0x3
	v_lshrrev_b32_e32 v35, 16, v192
	v_lshrrev_b32_e32 v37, 16, v36
	s_delay_alu instid0(VALU_DEP_2) | instskip(NEXT) | instid1(VALU_DEP_2)
	v_mul_f16_e64 v204, v36, v35
	v_mul_f16_e32 v50, v37, v35
	v_add_nc_u32_e32 v35, 0x200, v67
	s_delay_alu instid0(VALU_DEP_3) | instskip(NEXT) | instid1(VALU_DEP_3)
	v_fmac_f16_e64 v204, v37, v192
	v_fma_f16 v205, v36, v192, -v50
	ds_load_2addr_b32 v[36:37], v35 offset0:96 offset1:152
	v_lshrrev_b32_e32 v50, 16, v52
	s_wait_dscnt 0x0
	v_lshrrev_b32_e32 v51, 16, v36
	s_delay_alu instid0(VALU_DEP_2) | instskip(NEXT) | instid1(VALU_DEP_2)
	v_mul_f16_e64 v192, v36, v50
	v_mul_f16_e32 v50, v51, v50
	s_delay_alu instid0(VALU_DEP_2) | instskip(NEXT) | instid1(VALU_DEP_2)
	v_fmac_f16_e64 v192, v51, v52
	v_fma_f16 v206, v36, v52, -v50
	v_lshrrev_b32_e32 v36, 16, v53
	v_lshrrev_b32_e32 v50, 16, v37
	s_delay_alu instid0(VALU_DEP_2) | instskip(NEXT) | instid1(VALU_DEP_2)
	v_mul_f16_e64 v207, v37, v36
	v_mul_f16_e32 v51, v50, v36
	s_delay_alu instid0(VALU_DEP_2) | instskip(SKIP_1) | instid1(VALU_DEP_3)
	v_fmac_f16_e64 v207, v50, v53
	v_add_nc_u32_e32 v50, 0xc00, v67
	v_fma_f16 v208, v37, v53, -v51
	s_wait_loadcnt 0x2
	v_lshrrev_b32_e32 v51, 16, v193
	ds_load_2addr_b32 v[36:37], v50 offset0:16 offset1:72
	s_wait_dscnt 0x0
	v_lshrrev_b32_e32 v52, 16, v36
	v_mul_f16_e32 v53, v36, v51
	s_delay_alu instid0(VALU_DEP_2) | instskip(NEXT) | instid1(VALU_DEP_2)
	v_mul_f16_e32 v51, v52, v51
	v_fmac_f16_e64 v53, v52, v193
	s_delay_alu instid0(VALU_DEP_2) | instskip(SKIP_3) | instid1(VALU_DEP_2)
	v_fma_f16 v193, v36, v193, -v51
	s_wait_loadcnt 0x1
	v_lshrrev_b32_e32 v36, 16, v194
	v_lshrrev_b32_e32 v51, 16, v37
	v_mul_f16_e64 v209, v37, v36
	s_delay_alu instid0(VALU_DEP_2) | instskip(NEXT) | instid1(VALU_DEP_2)
	v_mul_f16_e32 v52, v51, v36
	v_fmac_f16_e64 v209, v51, v194
	v_add_nc_u32_e32 v51, 0x400, v67
	s_delay_alu instid0(VALU_DEP_3)
	v_fma_f16 v210, v37, v194, -v52
	v_lshrrev_b32_e32 v52, 16, v54
	ds_load_2addr_b32 v[36:37], v51 offset0:80 offset1:136
	s_wait_dscnt 0x0
	v_lshrrev_b32_e32 v194, 16, v36
	v_mul_f16_e64 v211, v36, v52
	s_delay_alu instid0(VALU_DEP_2) | instskip(NEXT) | instid1(VALU_DEP_2)
	v_mul_f16_e64 v52, v194, v52
	v_fmac_f16_e64 v211, v194, v54
	s_delay_alu instid0(VALU_DEP_2) | instskip(SKIP_2) | instid1(VALU_DEP_3)
	v_fma_f16 v54, v36, v54, -v52
	v_lshrrev_b32_e32 v36, 16, v187
	v_lshrrev_b32_e32 v52, 16, v37
	v_pack_b32_f16 v54, v54, v211
	s_delay_alu instid0(VALU_DEP_3) | instskip(NEXT) | instid1(VALU_DEP_3)
	v_mul_f16_e64 v212, v37, v36
	v_mul_f16_e64 v194, v52, v36
	s_delay_alu instid0(VALU_DEP_2)
	v_fmac_f16_e64 v212, v52, v187
	global_load_b32 v52, v38, s[0:1] offset:1792
	v_fma_f16 v194, v37, v187, -v194
	ds_load_2addr_b32 v[36:37], v51 offset0:192 offset1:248
	s_wait_loadcnt 0x1
	v_lshrrev_b32_e32 v187, 16, v195
	s_wait_dscnt 0x0
	v_lshrrev_b32_e32 v213, 16, v37
	s_delay_alu instid0(VALU_DEP_2) | instskip(NEXT) | instid1(VALU_DEP_2)
	v_mul_f16_e64 v214, v37, v187
	v_mul_f16_e64 v187, v213, v187
	s_delay_alu instid0(VALU_DEP_2) | instskip(NEXT) | instid1(VALU_DEP_2)
	v_fmac_f16_e64 v214, v213, v195
	v_fma_f16 v187, v37, v195, -v187
	v_lshrrev_b32_e32 v195, 16, v36
	s_wait_loadcnt 0x0
	v_lshrrev_b32_e32 v37, 16, v52
	s_delay_alu instid0(VALU_DEP_1) | instskip(SKIP_1) | instid1(VALU_DEP_2)
	v_mul_f16_e64 v213, v195, v37
	v_mul_f16_e64 v215, v36, v37
	v_fma_f16 v213, v36, v52, -v213
	s_delay_alu instid0(VALU_DEP_2)
	v_fmac_f16_e64 v215, v195, v52
	s_clause 0x1
	global_load_b32 v52, v38, s[0:1] offset:3584
	global_load_b32 v38, v38, s[0:1] offset:3808
	ds_load_2addr_b32 v[36:37], v50 offset0:128 offset1:184
	s_wait_dscnt 0x0
	v_lshrrev_b32_e32 v216, 16, v36
	s_wait_loadcnt 0x1
	v_lshrrev_b32_e32 v195, 16, v52
	s_delay_alu instid0(VALU_DEP_1) | instskip(NEXT) | instid1(VALU_DEP_3)
	v_mul_f16_e64 v217, v36, v195
	v_mul_f16_e64 v195, v216, v195
	s_delay_alu instid0(VALU_DEP_2) | instskip(NEXT) | instid1(VALU_DEP_2)
	v_fmac_f16_e64 v217, v216, v52
	v_fma_f16 v36, v36, v52, -v195
	s_wait_loadcnt 0x0
	v_lshrrev_b32_e32 v52, 16, v38
	v_lshrrev_b32_e32 v195, 16, v37
	s_delay_alu instid0(VALU_DEP_3) | instskip(NEXT) | instid1(VALU_DEP_3)
	v_pack_b32_f16 v36, v36, v217
	v_mul_f16_e64 v218, v37, v52
	s_delay_alu instid0(VALU_DEP_3) | instskip(SKIP_1) | instid1(VALU_DEP_3)
	v_mul_f16_e64 v216, v195, v52
	v_add_nc_u32_e32 v52, 0x600, v67
	v_fmac_f16_e64 v218, v195, v38
	s_delay_alu instid0(VALU_DEP_3)
	v_fma_f16 v37, v37, v38, -v216
	v_pack_b32_f16 v38, v187, v214
	v_pack_b32_f16 v187, v196, v198
	ds_store_2addr_b32 v52, v38, v187 offset0:120 offset1:176
	v_pack_b32_f16 v38, v189, v188
	v_pack_b32_f16 v187, v190, v200
	ds_store_2addr_b32 v67, v38, v187 offset0:56 offset1:112
	;; [unrolled: 3-line block ×4, first 2 shown]
	v_pack_b32_f16 v38, v205, v204
	v_pack_b32_f16 v187, v193, v53
	v_add_nc_u32_e32 v53, 0xa00, v67
	ds_store_2addr_b32 v53, v38, v187 offset0:88 offset1:144
	v_pack_b32_f16 v38, v208, v207
	ds_store_2addr_b32 v51, v38, v54 offset0:24 offset1:80
	v_pack_b32_f16 v38, v210, v209
	;; [unrolled: 2-line block ×3, first 2 shown]
	v_pack_b32_f16 v38, v213, v215
	ds_store_2addr_b32 v51, v36, v38 offset0:136 offset1:192
	v_pack_b32_f16 v36, v37, v218
	ds_store_b32 v67, v36 offset:3808
	global_wb scope:SCOPE_SE
	s_wait_dscnt 0x0
	s_barrier_signal -1
	s_barrier_wait -1
	global_inv scope:SCOPE_SE
	ds_load_2addr_b32 v[36:37], v67 offset1:56
	ds_load_2addr_b32 v[187:188], v51 offset0:192 offset1:248
	ds_load_2addr_b32 v[190:191], v49 offset0:48 offset1:104
	;; [unrolled: 1-line block ×8, first 2 shown]
	global_wb scope:SCOPE_SE
	s_wait_dscnt 0x0
	s_barrier_signal -1
	s_barrier_wait -1
	global_inv scope:SCOPE_SE
	v_pk_add_f16 v38, v37, v190 neg_lo:[0,1] neg_hi:[0,1]
	v_pk_add_f16 v189, v36, v188 neg_lo:[0,1] neg_hi:[0,1]
	s_delay_alu instid0(VALU_DEP_2) | instskip(NEXT) | instid1(VALU_DEP_2)
	v_pk_fma_f16 v37, v37, 2.0, v38 op_sel_hi:[1,0,1] neg_lo:[0,0,1] neg_hi:[0,0,1]
	v_pk_fma_f16 v188, v36, 2.0, v189 op_sel_hi:[1,0,1] neg_lo:[0,0,1] neg_hi:[0,0,1]
	ds_store_b64 v96, v[188:189]
	ds_store_b64 v98, v[37:38]
	v_pk_add_f16 v37, v192, v191 neg_lo:[0,1] neg_hi:[0,1]
	s_delay_alu instid0(VALU_DEP_1) | instskip(SKIP_2) | instid1(VALU_DEP_1)
	v_pk_fma_f16 v36, v192, 2.0, v37 op_sel_hi:[1,0,1] neg_lo:[0,0,1] neg_hi:[0,0,1]
	ds_store_b64 v106, v[36:37]
	v_pk_add_f16 v37, v193, v194 neg_lo:[0,1] neg_hi:[0,1]
	v_pk_fma_f16 v36, v193, 2.0, v37 op_sel_hi:[1,0,1] neg_lo:[0,0,1] neg_hi:[0,0,1]
	ds_store_b64 v104, v[36:37]
	v_pk_add_f16 v37, v196, v195 neg_lo:[0,1] neg_hi:[0,1]
	s_delay_alu instid0(VALU_DEP_1) | instskip(SKIP_2) | instid1(VALU_DEP_1)
	v_pk_fma_f16 v36, v196, 2.0, v37 op_sel_hi:[1,0,1] neg_lo:[0,0,1] neg_hi:[0,0,1]
	ds_store_b64 v103, v[36:37]
	v_pk_add_f16 v37, v197, v198 neg_lo:[0,1] neg_hi:[0,1]
	v_pk_fma_f16 v36, v197, 2.0, v37 op_sel_hi:[1,0,1] neg_lo:[0,0,1] neg_hi:[0,0,1]
	;; [unrolled: 7-line block ×3, first 2 shown]
	ds_store_b64 v185, v[36:37]
	v_pk_add_f16 v37, v187, v203 neg_lo:[0,1] neg_hi:[0,1]
	s_delay_alu instid0(VALU_DEP_1)
	v_pk_fma_f16 v36, v187, 2.0, v37 op_sel_hi:[1,0,1] neg_lo:[0,0,1] neg_hi:[0,0,1]
	ds_store_b64 v99, v[36:37]
	global_wb scope:SCOPE_SE
	s_wait_dscnt 0x0
	s_barrier_signal -1
	s_barrier_wait -1
	global_inv scope:SCOPE_SE
	ds_load_2addr_b32 v[36:37], v51 offset0:192 offset1:248
	s_wait_dscnt 0x0
	v_lshrrev_b32_e32 v38, 16, v37
	v_mul_f16_e32 v54, v107, v37
	s_delay_alu instid0(VALU_DEP_2) | instskip(NEXT) | instid1(VALU_DEP_2)
	v_mul_f16_e32 v96, v107, v38
	v_fma_f16 v54, v95, v38, -v54
	s_delay_alu instid0(VALU_DEP_2) | instskip(SKIP_4) | instid1(VALU_DEP_2)
	v_fmac_f16_e32 v96, v95, v37
	ds_load_2addr_b32 v[37:38], v67 offset1:56
	s_wait_dscnt 0x0
	v_lshrrev_b32_e32 v98, 16, v37
	v_sub_f16_e32 v96, v37, v96
	v_sub_f16_e32 v54, v98, v54
	s_delay_alu instid0(VALU_DEP_2) | instskip(NEXT) | instid1(VALU_DEP_2)
	v_fma_f16 v37, v37, 2.0, -v96
	v_fma_f16 v98, v98, 2.0, -v54
	v_pack_b32_f16 v54, v96, v54
	v_lshrrev_b32_e32 v96, 16, v38
	s_delay_alu instid0(VALU_DEP_3)
	v_pack_b32_f16 v37, v37, v98
	ds_load_2addr_b32 v[98:99], v49 offset0:48 offset1:104
	ds_load_2addr_b32 v[102:103], v67 offset0:112 offset1:168
	;; [unrolled: 1-line block ×7, first 2 shown]
	global_wb scope:SCOPE_SE
	s_wait_dscnt 0x0
	s_barrier_signal -1
	s_barrier_wait -1
	global_inv scope:SCOPE_SE
	ds_store_2addr_b32 v112, v37, v54 offset1:2
	v_lshrrev_b32_e32 v37, 16, v98
	v_mul_f16_e32 v54, v107, v98
	s_delay_alu instid0(VALU_DEP_1) | instskip(SKIP_1) | instid1(VALU_DEP_2)
	v_fma_f16 v54, v95, v37, -v54
	v_mul_f16_e32 v37, v107, v37
	v_sub_f16_e32 v54, v96, v54
	s_delay_alu instid0(VALU_DEP_2) | instskip(NEXT) | instid1(VALU_DEP_2)
	v_fmac_f16_e32 v37, v95, v98
	v_fma_f16 v96, v96, 2.0, -v54
	s_delay_alu instid0(VALU_DEP_2) | instskip(NEXT) | instid1(VALU_DEP_1)
	v_sub_f16_e32 v37, v38, v37
	v_fma_f16 v38, v38, 2.0, -v37
	v_pack_b32_f16 v37, v37, v54
	v_mul_f16_e32 v54, v107, v99
	s_delay_alu instid0(VALU_DEP_3) | instskip(SKIP_2) | instid1(VALU_DEP_1)
	v_pack_b32_f16 v38, v38, v96
	ds_store_2addr_b32 v113, v38, v37 offset1:2
	v_lshrrev_b32_e32 v37, 16, v99
	v_mul_f16_e32 v38, v107, v37
	v_fma_f16 v37, v95, v37, -v54
	v_lshrrev_b32_e32 v54, 16, v102
	s_delay_alu instid0(VALU_DEP_3) | instskip(NEXT) | instid1(VALU_DEP_2)
	v_fmac_f16_e32 v38, v95, v99
	v_sub_f16_e32 v37, v54, v37
	s_delay_alu instid0(VALU_DEP_2) | instskip(NEXT) | instid1(VALU_DEP_2)
	v_sub_f16_e32 v38, v102, v38
	v_fma_f16 v54, v54, 2.0, -v37
	s_delay_alu instid0(VALU_DEP_2) | instskip(SKIP_1) | instid1(VALU_DEP_1)
	v_pack_b32_f16 v37, v38, v37
	v_fma_f16 v38, v102, 2.0, -v38
	v_pack_b32_f16 v38, v38, v54
	v_lshrrev_b32_e32 v54, 16, v103
	ds_store_2addr_b32 v111, v38, v37 offset1:2
	v_lshrrev_b32_e32 v37, 16, v185
	v_mul_f16_e64 v38, v107, v185
	s_delay_alu instid0(VALU_DEP_1) | instskip(SKIP_1) | instid1(VALU_DEP_2)
	v_fma_f16 v38, v95, v37, -v38
	v_mul_f16_e32 v37, v107, v37
	v_sub_f16_e32 v38, v54, v38
	s_delay_alu instid0(VALU_DEP_2) | instskip(NEXT) | instid1(VALU_DEP_2)
	v_fmac_f16_e64 v37, v95, v185
	v_fma_f16 v54, v54, 2.0, -v38
	s_delay_alu instid0(VALU_DEP_2) | instskip(NEXT) | instid1(VALU_DEP_1)
	v_sub_f16_e32 v37, v103, v37
	v_fma_f16 v96, v103, 2.0, -v37
	v_pack_b32_f16 v37, v37, v38
	s_delay_alu instid0(VALU_DEP_2) | instskip(SKIP_3) | instid1(VALU_DEP_1)
	v_pack_b32_f16 v38, v96, v54
	v_mul_f16_e64 v54, v107, v186
	ds_store_2addr_b32 v110, v38, v37 offset1:2
	v_lshrrev_b32_e32 v37, 16, v186
	v_mul_f16_e32 v38, v107, v37
	v_fma_f16 v37, v95, v37, -v54
	v_lshrrev_b32_e32 v54, 16, v187
	s_delay_alu instid0(VALU_DEP_3) | instskip(NEXT) | instid1(VALU_DEP_2)
	v_fmac_f16_e64 v38, v95, v186
	v_sub_f16_e32 v37, v54, v37
	s_delay_alu instid0(VALU_DEP_2) | instskip(NEXT) | instid1(VALU_DEP_2)
	v_sub_f16_e64 v38, v187, v38
	v_fma_f16 v54, v54, 2.0, -v37
	s_delay_alu instid0(VALU_DEP_2) | instskip(SKIP_1) | instid1(VALU_DEP_1)
	v_pack_b32_f16 v37, v38, v37
	v_fma_f16 v38, v187, 2.0, -v38
	v_pack_b32_f16 v38, v38, v54
	v_lshrrev_b32_e32 v54, 16, v188
	ds_store_2addr_b32 v109, v38, v37 offset1:2
	v_lshrrev_b32_e32 v37, 16, v189
	v_mul_f16_e64 v38, v107, v189
	s_delay_alu instid0(VALU_DEP_1) | instskip(SKIP_1) | instid1(VALU_DEP_2)
	v_fma_f16 v38, v95, v37, -v38
	v_mul_f16_e32 v37, v107, v37
	v_sub_f16_e32 v38, v54, v38
	s_delay_alu instid0(VALU_DEP_2) | instskip(NEXT) | instid1(VALU_DEP_2)
	v_fmac_f16_e64 v37, v95, v189
	v_fma_f16 v54, v54, 2.0, -v38
	s_delay_alu instid0(VALU_DEP_2) | instskip(NEXT) | instid1(VALU_DEP_1)
	v_sub_f16_e64 v37, v188, v37
	v_fma_f16 v96, v188, 2.0, -v37
	v_pack_b32_f16 v37, v37, v38
	s_delay_alu instid0(VALU_DEP_2) | instskip(SKIP_3) | instid1(VALU_DEP_1)
	v_pack_b32_f16 v38, v96, v54
	v_mul_f16_e64 v54, v107, v190
	ds_store_2addr_b32 v108, v38, v37 offset1:2
	v_lshrrev_b32_e32 v37, 16, v190
	v_mul_f16_e32 v38, v107, v37
	v_fma_f16 v37, v95, v37, -v54
	v_lshrrev_b32_e32 v54, 16, v191
	s_delay_alu instid0(VALU_DEP_3) | instskip(NEXT) | instid1(VALU_DEP_2)
	v_fmac_f16_e64 v38, v95, v190
	v_sub_f16_e32 v37, v54, v37
	s_delay_alu instid0(VALU_DEP_2) | instskip(NEXT) | instid1(VALU_DEP_2)
	v_sub_f16_e64 v38, v191, v38
	v_fma_f16 v54, v54, 2.0, -v37
	s_delay_alu instid0(VALU_DEP_2) | instskip(SKIP_1) | instid1(VALU_DEP_1)
	v_pack_b32_f16 v37, v38, v37
	v_fma_f16 v38, v191, 2.0, -v38
	v_pack_b32_f16 v38, v38, v54
	v_lshrrev_b32_e32 v54, 16, v192
	ds_store_2addr_b32 v105, v38, v37 offset1:2
	v_lshrrev_b32_e32 v37, 16, v193
	v_mul_f16_e64 v38, v107, v193
	s_delay_alu instid0(VALU_DEP_1) | instskip(SKIP_1) | instid1(VALU_DEP_2)
	v_fma_f16 v38, v95, v37, -v38
	v_mul_f16_e32 v37, v107, v37
	v_sub_f16_e32 v38, v54, v38
	s_delay_alu instid0(VALU_DEP_2) | instskip(NEXT) | instid1(VALU_DEP_2)
	v_fmac_f16_e64 v37, v95, v193
	v_fma_f16 v54, v54, 2.0, -v38
	s_delay_alu instid0(VALU_DEP_2) | instskip(NEXT) | instid1(VALU_DEP_1)
	v_sub_f16_e64 v37, v192, v37
	v_fma_f16 v96, v192, 2.0, -v37
	v_pack_b32_f16 v37, v37, v38
	s_delay_alu instid0(VALU_DEP_2) | instskip(SKIP_3) | instid1(VALU_DEP_1)
	v_pack_b32_f16 v38, v96, v54
	v_mul_f16_e64 v54, v107, v194
	ds_store_2addr_b32 v101, v38, v37 offset1:2
	v_lshrrev_b32_e32 v37, 16, v194
	v_mul_f16_e32 v38, v107, v37
	v_fma_f16 v37, v95, v37, -v54
	v_lshrrev_b32_e32 v54, 16, v36
	s_delay_alu instid0(VALU_DEP_3) | instskip(NEXT) | instid1(VALU_DEP_2)
	v_fmac_f16_e64 v38, v95, v194
	v_sub_f16_e32 v37, v54, v37
	s_delay_alu instid0(VALU_DEP_2) | instskip(NEXT) | instid1(VALU_DEP_2)
	v_sub_f16_e32 v38, v36, v38
	v_fma_f16 v54, v54, 2.0, -v37
	s_delay_alu instid0(VALU_DEP_2) | instskip(SKIP_1) | instid1(VALU_DEP_2)
	v_fma_f16 v36, v36, 2.0, -v38
	v_pack_b32_f16 v37, v38, v37
	v_pack_b32_f16 v36, v36, v54
	ds_store_2addr_b32 v100, v36, v37 offset1:2
	global_wb scope:SCOPE_SE
	s_wait_dscnt 0x0
	s_barrier_signal -1
	s_barrier_wait -1
	global_inv scope:SCOPE_SE
	ds_load_2addr_b32 v[36:37], v51 offset0:192 offset1:248
	s_wait_dscnt 0x0
	v_lshrrev_b32_e32 v38, 16, v37
	v_mul_f16_e64 v54, v131, v37
	s_delay_alu instid0(VALU_DEP_2) | instskip(NEXT) | instid1(VALU_DEP_2)
	v_mul_f16_e64 v95, v131, v38
	v_fma_f16 v54, v97, v38, -v54
	s_delay_alu instid0(VALU_DEP_2) | instskip(SKIP_4) | instid1(VALU_DEP_2)
	v_fmac_f16_e32 v95, v97, v37
	ds_load_2addr_b32 v[37:38], v67 offset1:56
	s_wait_dscnt 0x0
	v_lshrrev_b32_e32 v96, 16, v37
	v_sub_f16_e32 v95, v37, v95
	v_sub_f16_e32 v54, v96, v54
	s_delay_alu instid0(VALU_DEP_2) | instskip(NEXT) | instid1(VALU_DEP_2)
	v_fma_f16 v37, v37, 2.0, -v95
	v_fma_f16 v96, v96, 2.0, -v54
	v_pack_b32_f16 v54, v95, v54
	s_delay_alu instid0(VALU_DEP_2)
	v_pack_b32_f16 v37, v37, v96
	ds_load_2addr_b32 v[95:96], v49 offset0:48 offset1:104
	ds_load_2addr_b32 v[98:99], v67 offset0:112 offset1:168
	;; [unrolled: 1-line block ×7, first 2 shown]
	global_wb scope:SCOPE_SE
	s_wait_dscnt 0x0
	s_barrier_signal -1
	s_barrier_wait -1
	global_inv scope:SCOPE_SE
	ds_store_2addr_b32 v147, v37, v54 offset1:4
	v_lshrrev_b32_e32 v37, 16, v95
	v_mul_f16_e64 v54, v131, v95
	s_delay_alu instid0(VALU_DEP_1) | instskip(SKIP_1) | instid1(VALU_DEP_1)
	v_fma_f16 v54, v97, v37, -v54
	v_mul_f16_e64 v37, v131, v37
	v_fmac_f16_e32 v37, v97, v95
	v_lshrrev_b32_e32 v95, 16, v38
	s_delay_alu instid0(VALU_DEP_2) | instskip(NEXT) | instid1(VALU_DEP_2)
	v_sub_f16_e32 v37, v38, v37
	v_sub_f16_e32 v54, v95, v54
	s_delay_alu instid0(VALU_DEP_2) | instskip(NEXT) | instid1(VALU_DEP_2)
	v_fma_f16 v38, v38, 2.0, -v37
	v_fma_f16 v95, v95, 2.0, -v54
	v_pack_b32_f16 v37, v37, v54
	v_mul_f16_e64 v54, v131, v96
	s_delay_alu instid0(VALU_DEP_3) | instskip(SKIP_2) | instid1(VALU_DEP_1)
	v_pack_b32_f16 v38, v38, v95
	ds_store_2addr_b32 v143, v38, v37 offset1:4
	v_lshrrev_b32_e32 v37, 16, v96
	v_mul_f16_e64 v38, v131, v37
	v_fma_f16 v37, v97, v37, -v54
	v_lshrrev_b32_e32 v54, 16, v98
	s_delay_alu instid0(VALU_DEP_3) | instskip(NEXT) | instid1(VALU_DEP_2)
	v_fmac_f16_e32 v38, v97, v96
	v_sub_f16_e32 v37, v54, v37
	s_delay_alu instid0(VALU_DEP_2) | instskip(NEXT) | instid1(VALU_DEP_2)
	v_sub_f16_e32 v38, v98, v38
	v_fma_f16 v54, v54, 2.0, -v37
	s_delay_alu instid0(VALU_DEP_2) | instskip(SKIP_1) | instid1(VALU_DEP_1)
	v_pack_b32_f16 v37, v38, v37
	v_fma_f16 v38, v98, 2.0, -v38
	v_pack_b32_f16 v38, v38, v54
	v_lshrrev_b32_e32 v54, 16, v99
	ds_store_2addr_b32 v141, v38, v37 offset1:4
	v_lshrrev_b32_e32 v37, 16, v100
	v_mul_f16_e64 v38, v131, v100
	s_delay_alu instid0(VALU_DEP_1) | instskip(SKIP_1) | instid1(VALU_DEP_2)
	v_fma_f16 v38, v97, v37, -v38
	v_mul_f16_e64 v37, v131, v37
	v_sub_f16_e32 v38, v54, v38
	s_delay_alu instid0(VALU_DEP_2) | instskip(NEXT) | instid1(VALU_DEP_2)
	v_fmac_f16_e32 v37, v97, v100
	v_fma_f16 v54, v54, 2.0, -v38
	s_delay_alu instid0(VALU_DEP_2) | instskip(NEXT) | instid1(VALU_DEP_1)
	v_sub_f16_e32 v37, v99, v37
	v_fma_f16 v95, v99, 2.0, -v37
	v_pack_b32_f16 v37, v37, v38
	s_delay_alu instid0(VALU_DEP_2) | instskip(SKIP_3) | instid1(VALU_DEP_1)
	v_pack_b32_f16 v38, v95, v54
	v_mul_f16_e64 v54, v131, v101
	ds_store_2addr_b32 v138, v38, v37 offset1:4
	v_lshrrev_b32_e32 v37, 16, v101
	v_mul_f16_e64 v38, v131, v37
	v_fma_f16 v37, v97, v37, -v54
	v_lshrrev_b32_e32 v54, 16, v102
	s_delay_alu instid0(VALU_DEP_3) | instskip(NEXT) | instid1(VALU_DEP_2)
	v_fmac_f16_e32 v38, v97, v101
	v_sub_f16_e32 v37, v54, v37
	s_delay_alu instid0(VALU_DEP_2) | instskip(NEXT) | instid1(VALU_DEP_2)
	v_sub_f16_e32 v38, v102, v38
	v_fma_f16 v54, v54, 2.0, -v37
	s_delay_alu instid0(VALU_DEP_2) | instskip(SKIP_1) | instid1(VALU_DEP_1)
	v_pack_b32_f16 v37, v38, v37
	v_fma_f16 v38, v102, 2.0, -v38
	v_pack_b32_f16 v38, v38, v54
	v_lshrrev_b32_e32 v54, 16, v103
	ds_store_2addr_b32 v135, v38, v37 offset1:4
	v_lshrrev_b32_e32 v37, 16, v104
	v_mul_f16_e64 v38, v131, v104
	s_delay_alu instid0(VALU_DEP_1) | instskip(SKIP_1) | instid1(VALU_DEP_2)
	v_fma_f16 v38, v97, v37, -v38
	v_mul_f16_e64 v37, v131, v37
	v_sub_f16_e32 v38, v54, v38
	s_delay_alu instid0(VALU_DEP_2) | instskip(NEXT) | instid1(VALU_DEP_2)
	v_fmac_f16_e32 v37, v97, v104
	v_fma_f16 v54, v54, 2.0, -v38
	s_delay_alu instid0(VALU_DEP_2) | instskip(NEXT) | instid1(VALU_DEP_1)
	v_sub_f16_e32 v37, v103, v37
	v_fma_f16 v95, v103, 2.0, -v37
	v_pack_b32_f16 v37, v37, v38
	s_delay_alu instid0(VALU_DEP_2) | instskip(SKIP_3) | instid1(VALU_DEP_1)
	v_pack_b32_f16 v38, v95, v54
	v_mul_f16_e64 v54, v131, v105
	;; [unrolled: 33-line block ×3, first 2 shown]
	ds_store_2addr_b32 v127, v38, v37 offset1:4
	v_lshrrev_b32_e32 v37, 16, v109
	v_mul_f16_e64 v38, v131, v37
	v_fma_f16 v37, v97, v37, -v54
	v_lshrrev_b32_e32 v54, 16, v36
	s_delay_alu instid0(VALU_DEP_3) | instskip(NEXT) | instid1(VALU_DEP_2)
	v_fmac_f16_e32 v38, v97, v109
	v_sub_f16_e32 v37, v54, v37
	s_delay_alu instid0(VALU_DEP_2) | instskip(NEXT) | instid1(VALU_DEP_2)
	v_sub_f16_e32 v38, v36, v38
	v_fma_f16 v54, v54, 2.0, -v37
	s_delay_alu instid0(VALU_DEP_2) | instskip(SKIP_1) | instid1(VALU_DEP_2)
	v_fma_f16 v36, v36, 2.0, -v38
	v_pack_b32_f16 v37, v38, v37
	v_pack_b32_f16 v36, v36, v54
	ds_store_2addr_b32 v124, v36, v37 offset1:4
	global_wb scope:SCOPE_SE
	s_wait_dscnt 0x0
	s_barrier_signal -1
	s_barrier_wait -1
	global_inv scope:SCOPE_SE
	ds_load_2addr_b32 v[36:37], v51 offset0:192 offset1:248
	s_wait_dscnt 0x0
	v_lshrrev_b32_e32 v38, 16, v37
	v_mul_f16_e64 v54, v134, v37
	s_delay_alu instid0(VALU_DEP_2) | instskip(NEXT) | instid1(VALU_DEP_2)
	v_mul_f16_e64 v95, v134, v38
	v_fma_f16 v54, v114, v38, -v54
	s_delay_alu instid0(VALU_DEP_2) | instskip(SKIP_4) | instid1(VALU_DEP_2)
	v_fmac_f16_e32 v95, v114, v37
	ds_load_2addr_b32 v[37:38], v67 offset1:56
	s_wait_dscnt 0x0
	v_lshrrev_b32_e32 v96, 16, v37
	v_sub_f16_e32 v95, v37, v95
	v_sub_f16_e32 v54, v96, v54
	s_delay_alu instid0(VALU_DEP_2) | instskip(NEXT) | instid1(VALU_DEP_2)
	v_fma_f16 v37, v37, 2.0, -v95
	v_fma_f16 v96, v96, 2.0, -v54
	v_pack_b32_f16 v54, v95, v54
	s_delay_alu instid0(VALU_DEP_2)
	v_pack_b32_f16 v37, v37, v96
	ds_load_2addr_b32 v[95:96], v49 offset0:48 offset1:104
	ds_load_2addr_b32 v[97:98], v67 offset0:112 offset1:168
	;; [unrolled: 1-line block ×7, first 2 shown]
	global_wb scope:SCOPE_SE
	s_wait_dscnt 0x0
	s_barrier_signal -1
	s_barrier_wait -1
	global_inv scope:SCOPE_SE
	ds_store_2addr_b32 v153, v37, v54 offset1:8
	v_lshrrev_b32_e32 v37, 16, v95
	v_mul_f16_e64 v54, v134, v95
	s_delay_alu instid0(VALU_DEP_1) | instskip(SKIP_1) | instid1(VALU_DEP_1)
	v_fma_f16 v54, v114, v37, -v54
	v_mul_f16_e64 v37, v134, v37
	v_fmac_f16_e32 v37, v114, v95
	v_lshrrev_b32_e32 v95, 16, v38
	s_delay_alu instid0(VALU_DEP_2) | instskip(NEXT) | instid1(VALU_DEP_2)
	v_sub_f16_e32 v37, v38, v37
	v_sub_f16_e32 v54, v95, v54
	s_delay_alu instid0(VALU_DEP_2) | instskip(NEXT) | instid1(VALU_DEP_2)
	v_fma_f16 v38, v38, 2.0, -v37
	v_fma_f16 v95, v95, 2.0, -v54
	v_pack_b32_f16 v37, v37, v54
	v_mul_f16_e64 v54, v134, v96
	s_delay_alu instid0(VALU_DEP_3) | instskip(SKIP_2) | instid1(VALU_DEP_1)
	v_pack_b32_f16 v38, v38, v95
	ds_store_2addr_b32 v152, v38, v37 offset1:8
	v_lshrrev_b32_e32 v37, 16, v96
	v_mul_f16_e64 v38, v134, v37
	v_fma_f16 v37, v114, v37, -v54
	v_lshrrev_b32_e32 v54, 16, v97
	s_delay_alu instid0(VALU_DEP_3) | instskip(NEXT) | instid1(VALU_DEP_2)
	v_fmac_f16_e32 v38, v114, v96
	v_sub_f16_e32 v37, v54, v37
	s_delay_alu instid0(VALU_DEP_2) | instskip(NEXT) | instid1(VALU_DEP_2)
	v_sub_f16_e32 v38, v97, v38
	v_fma_f16 v54, v54, 2.0, -v37
	s_delay_alu instid0(VALU_DEP_2) | instskip(SKIP_1) | instid1(VALU_DEP_1)
	v_pack_b32_f16 v37, v38, v37
	v_fma_f16 v38, v97, 2.0, -v38
	v_pack_b32_f16 v38, v38, v54
	v_lshrrev_b32_e32 v54, 16, v98
	ds_store_2addr_b32 v149, v38, v37 offset1:8
	v_lshrrev_b32_e32 v37, 16, v99
	v_mul_f16_e64 v38, v134, v99
	s_delay_alu instid0(VALU_DEP_1) | instskip(SKIP_1) | instid1(VALU_DEP_2)
	v_fma_f16 v38, v114, v37, -v38
	v_mul_f16_e64 v37, v134, v37
	v_sub_f16_e32 v38, v54, v38
	s_delay_alu instid0(VALU_DEP_2) | instskip(NEXT) | instid1(VALU_DEP_2)
	v_fmac_f16_e32 v37, v114, v99
	v_fma_f16 v54, v54, 2.0, -v38
	s_delay_alu instid0(VALU_DEP_2) | instskip(NEXT) | instid1(VALU_DEP_1)
	v_sub_f16_e32 v37, v98, v37
	v_fma_f16 v95, v98, 2.0, -v37
	v_pack_b32_f16 v37, v37, v38
	s_delay_alu instid0(VALU_DEP_2) | instskip(SKIP_3) | instid1(VALU_DEP_1)
	v_pack_b32_f16 v38, v95, v54
	v_mul_f16_e64 v54, v134, v100
	ds_store_2addr_b32 v146, v38, v37 offset1:8
	v_lshrrev_b32_e32 v37, 16, v100
	v_mul_f16_e64 v38, v134, v37
	v_fma_f16 v37, v114, v37, -v54
	v_lshrrev_b32_e32 v54, 16, v101
	s_delay_alu instid0(VALU_DEP_3) | instskip(NEXT) | instid1(VALU_DEP_2)
	v_fmac_f16_e32 v38, v114, v100
	v_sub_f16_e32 v37, v54, v37
	s_delay_alu instid0(VALU_DEP_2) | instskip(NEXT) | instid1(VALU_DEP_2)
	v_sub_f16_e32 v38, v101, v38
	v_fma_f16 v54, v54, 2.0, -v37
	s_delay_alu instid0(VALU_DEP_2) | instskip(SKIP_2) | instid1(VALU_DEP_3)
	v_fma_f16 v95, v101, 2.0, -v38
	v_pack_b32_f16 v37, v38, v37
	v_mul_f16_e64 v38, v134, v103
	v_pack_b32_f16 v54, v95, v54
	ds_store_2addr_b32 v139, v54, v37 offset1:8
	v_lshrrev_b32_e32 v37, 16, v103
	v_lshrrev_b32_e32 v54, 16, v102
	s_delay_alu instid0(VALU_DEP_2) | instskip(SKIP_1) | instid1(VALU_DEP_2)
	v_fma_f16 v38, v114, v37, -v38
	v_mul_f16_e64 v37, v134, v37
	v_sub_f16_e32 v38, v54, v38
	s_delay_alu instid0(VALU_DEP_2) | instskip(NEXT) | instid1(VALU_DEP_2)
	v_fmac_f16_e32 v37, v114, v103
	v_fma_f16 v54, v54, 2.0, -v38
	s_delay_alu instid0(VALU_DEP_2) | instskip(NEXT) | instid1(VALU_DEP_1)
	v_sub_f16_e32 v37, v102, v37
	v_fma_f16 v95, v102, 2.0, -v37
	v_pack_b32_f16 v37, v37, v38
	s_delay_alu instid0(VALU_DEP_2) | instskip(SKIP_3) | instid1(VALU_DEP_2)
	v_pack_b32_f16 v54, v95, v54
	ds_store_2addr_b32 v136, v54, v37 offset1:8
	v_lshrrev_b32_e32 v37, 16, v104
	v_mul_f16_e64 v54, v134, v104
	v_mul_f16_e64 v38, v134, v37
	s_delay_alu instid0(VALU_DEP_2) | instskip(SKIP_1) | instid1(VALU_DEP_3)
	v_fma_f16 v37, v114, v37, -v54
	v_lshrrev_b32_e32 v54, 16, v105
	v_fmac_f16_e32 v38, v114, v104
	s_delay_alu instid0(VALU_DEP_2) | instskip(NEXT) | instid1(VALU_DEP_2)
	v_sub_f16_e32 v37, v54, v37
	v_sub_f16_e32 v38, v105, v38
	s_delay_alu instid0(VALU_DEP_2) | instskip(NEXT) | instid1(VALU_DEP_2)
	v_fma_f16 v54, v54, 2.0, -v37
	v_fma_f16 v95, v105, 2.0, -v38
	v_pack_b32_f16 v37, v38, v37
	v_mul_f16_e64 v38, v134, v107
	s_delay_alu instid0(VALU_DEP_3) | instskip(SKIP_3) | instid1(VALU_DEP_2)
	v_pack_b32_f16 v54, v95, v54
	ds_store_2addr_b32 v133, v54, v37 offset1:8
	v_lshrrev_b32_e32 v37, 16, v107
	v_lshrrev_b32_e32 v54, 16, v106
	v_fma_f16 v38, v114, v37, -v38
	v_mul_f16_e64 v37, v134, v37
	s_delay_alu instid0(VALU_DEP_2) | instskip(NEXT) | instid1(VALU_DEP_2)
	v_sub_f16_e32 v38, v54, v38
	v_fmac_f16_e32 v37, v114, v107
	s_delay_alu instid0(VALU_DEP_2) | instskip(NEXT) | instid1(VALU_DEP_2)
	v_fma_f16 v54, v54, 2.0, -v38
	v_sub_f16_e32 v37, v106, v37
	s_delay_alu instid0(VALU_DEP_1) | instskip(SKIP_1) | instid1(VALU_DEP_2)
	v_fma_f16 v95, v106, 2.0, -v37
	v_pack_b32_f16 v37, v37, v38
	v_pack_b32_f16 v54, v95, v54
	ds_store_2addr_b32 v130, v54, v37 offset1:8
	v_lshrrev_b32_e32 v37, 16, v108
	v_mul_f16_e64 v54, v134, v108
	s_delay_alu instid0(VALU_DEP_2) | instskip(NEXT) | instid1(VALU_DEP_2)
	v_mul_f16_e64 v38, v134, v37
	v_fma_f16 v37, v114, v37, -v54
	v_lshrrev_b32_e32 v54, 16, v36
	s_delay_alu instid0(VALU_DEP_3) | instskip(NEXT) | instid1(VALU_DEP_2)
	v_fmac_f16_e32 v38, v114, v108
	v_sub_f16_e32 v37, v54, v37
	s_delay_alu instid0(VALU_DEP_2) | instskip(NEXT) | instid1(VALU_DEP_2)
	v_sub_f16_e32 v38, v36, v38
	v_fma_f16 v54, v54, 2.0, -v37
	s_delay_alu instid0(VALU_DEP_2) | instskip(SKIP_1) | instid1(VALU_DEP_2)
	v_fma_f16 v36, v36, 2.0, -v38
	v_pack_b32_f16 v37, v38, v37
	v_pack_b32_f16 v36, v36, v54
	ds_store_2addr_b32 v128, v36, v37 offset1:8
	global_wb scope:SCOPE_SE
	s_wait_dscnt 0x0
	s_barrier_signal -1
	s_barrier_wait -1
	global_inv scope:SCOPE_SE
	ds_load_2addr_b32 v[36:37], v51 offset0:80 offset1:136
	s_wait_dscnt 0x0
	v_lshrrev_b32_e32 v38, 16, v37
	v_mul_f16_e64 v54, v184, v37
	v_mul_f16_e64 v95, v177, v36
	s_delay_alu instid0(VALU_DEP_3) | instskip(NEXT) | instid1(VALU_DEP_3)
	v_mul_f16_e64 v97, v184, v38
	v_fma_f16 v38, v155, v38, -v54
	v_lshrrev_b32_e32 v54, 16, v36
	s_delay_alu instid0(VALU_DEP_3) | instskip(NEXT) | instid1(VALU_DEP_2)
	v_fmac_f16_e64 v97, v155, v37
	v_mul_f16_e64 v98, v177, v54
	v_fma_f16 v54, v15, v54, -v95
	s_delay_alu instid0(VALU_DEP_2)
	v_fmac_f16_e32 v98, v15, v36
	ds_load_2addr_b32 v[36:37], v49 offset0:160 offset1:216
	s_wait_dscnt 0x0
	v_lshrrev_b32_e32 v96, 16, v37
	v_mul_f16_e64 v99, v183, v37
	v_mul_f16_e64 v102, v176, v36
	s_delay_alu instid0(VALU_DEP_3) | instskip(NEXT) | instid1(VALU_DEP_3)
	v_mul_f16_e64 v100, v183, v96
	v_fma_f16 v99, v182, v96, -v99
	v_lshrrev_b32_e32 v96, 16, v36
	s_delay_alu instid0(VALU_DEP_3) | instskip(NEXT) | instid1(VALU_DEP_2)
	v_fmac_f16_e64 v100, v182, v37
	v_mul_f16_e64 v101, v176, v96
	v_fma_f16 v102, v16, v96, -v102
	s_delay_alu instid0(VALU_DEP_2)
	v_fmac_f16_e32 v101, v16, v36
	ds_load_2addr_b32 v[36:37], v51 offset0:192 offset1:248
	s_wait_dscnt 0x0
	v_lshrrev_b32_e32 v103, 16, v37
	v_mul_f16_e64 v104, v150, v37
	v_mul_f16_e64 v107, v177, v36
	s_delay_alu instid0(VALU_DEP_3) | instskip(NEXT) | instid1(VALU_DEP_3)
	v_mul_f16_e64 v105, v150, v103
	v_fma_f16 v103, v148, v103, -v104
	v_lshrrev_b32_e32 v104, 16, v36
	s_delay_alu instid0(VALU_DEP_3) | instskip(NEXT) | instid1(VALU_DEP_2)
	v_fmac_f16_e64 v105, v148, v37
	v_mul_f16_e64 v106, v177, v104
	v_fma_f16 v104, v15, v104, -v107
	s_delay_alu instid0(VALU_DEP_2) | instskip(SKIP_4) | instid1(VALU_DEP_2)
	v_fmac_f16_e32 v106, v15, v36
	ds_load_2addr_b32 v[36:37], v50 offset0:16 offset1:72
	s_wait_dscnt 0x0
	v_lshrrev_b32_e32 v108, 16, v37
	v_mul_f16_e64 v109, v144, v37
	v_mul_f16_e64 v110, v144, v108
	s_delay_alu instid0(VALU_DEP_2) | instskip(NEXT) | instid1(VALU_DEP_2)
	v_fma_f16 v108, v142, v108, -v109
	v_fmac_f16_e64 v110, v142, v37
	v_lshrrev_b32_e32 v37, 16, v36
	s_delay_alu instid0(VALU_DEP_1) | instskip(NEXT) | instid1(VALU_DEP_1)
	v_mul_f16_e64 v109, v176, v37
	v_fmac_f16_e32 v109, v16, v36
	v_mul_f16_e64 v36, v176, v36
	s_delay_alu instid0(VALU_DEP_1) | instskip(SKIP_4) | instid1(VALU_DEP_2)
	v_fma_f16 v107, v16, v37, -v36
	ds_load_2addr_b32 v[36:37], v49 offset0:48 offset1:104
	s_wait_dscnt 0x0
	v_lshrrev_b32_e32 v95, 16, v36
	v_mul_f16_e64 v96, v177, v36
	v_mul_f16_e64 v111, v177, v95
	s_delay_alu instid0(VALU_DEP_2)
	v_fma_f16 v112, v15, v95, -v96
	ds_load_2addr_b32 v[95:96], v50 offset0:128 offset1:184
	v_fmac_f16_e32 v111, v15, v36
	v_lshrrev_b32_e32 v15, 16, v37
	v_add_f16_e32 v36, v54, v102
	s_wait_dscnt 0x0
	v_lshrrev_b32_e32 v113, 16, v95
	v_mul_f16_e64 v114, v176, v95
	s_delay_alu instid0(VALU_DEP_2) | instskip(NEXT) | instid1(VALU_DEP_2)
	v_mul_f16_e64 v124, v176, v113
	v_fma_f16 v113, v16, v113, -v114
	v_mul_f16_e32 v114, v123, v15
	s_delay_alu instid0(VALU_DEP_3) | instskip(SKIP_1) | instid1(VALU_DEP_3)
	v_fmac_f16_e32 v124, v16, v95
	v_mul_f16_e32 v16, v123, v37
	v_fmac_f16_e32 v114, v119, v37
	v_add_f16_e32 v95, v98, v101
	s_delay_alu instid0(VALU_DEP_3) | instskip(SKIP_2) | instid1(VALU_DEP_2)
	v_fma_f16 v119, v119, v15, -v16
	v_lshrrev_b32_e32 v15, 16, v96
	v_mul_f16_e32 v16, v118, v96
	v_mul_f16_e32 v123, v118, v15
	s_delay_alu instid0(VALU_DEP_1) | instskip(NEXT) | instid1(VALU_DEP_3)
	v_fmac_f16_e32 v123, v115, v96
	v_fma_f16 v115, v115, v15, -v16
	ds_load_2addr_b32 v[15:16], v67 offset1:56
	s_wait_dscnt 0x0
	v_lshrrev_b32_e32 v118, 16, v15
	s_delay_alu instid0(VALU_DEP_1) | instskip(SKIP_2) | instid1(VALU_DEP_3)
	v_add_f16_e32 v37, v118, v54
	v_fmac_f16_e32 v118, -0.5, v36
	v_sub_f16_e32 v54, v54, v102
	v_add_f16_e32 v36, v37, v102
	v_add_f16_e32 v37, v15, v98
	v_sub_f16_e32 v98, v98, v101
	v_fma_f16 v15, -0.5, v95, v15
	s_delay_alu instid0(VALU_DEP_3) | instskip(NEXT) | instid1(VALU_DEP_1)
	v_add_f16_e32 v37, v37, v101
	v_pack_b32_f16 v101, v37, v36
	s_delay_alu instid0(VALU_DEP_3)
	v_fmamk_f16 v36, v54, 0xbaee, v15
	v_fmamk_f16 v37, v98, 0x3aee, v118
	v_fmac_f16_e32 v15, 0x3aee, v54
	v_fmac_f16_e32 v118, 0xbaee, v98
	v_lshrrev_b32_e32 v54, 16, v16
	v_add_f16_e32 v98, v16, v97
	v_pack_b32_f16 v102, v36, v37
	ds_load_2addr_b32 v[36:37], v67 offset0:112 offset1:168
	ds_load_2addr_b32 v[95:96], v35 offset0:96 offset1:152
	v_pack_b32_f16 v15, v15, v118
	global_wb scope:SCOPE_SE
	s_wait_dscnt 0x0
	s_barrier_signal -1
	s_barrier_wait -1
	global_inv scope:SCOPE_SE
	ds_store_b32 v154, v15 offset:128
	v_add_f16_e32 v15, v97, v100
	ds_store_2addr_b32 v154, v101, v102 offset1:16
	v_add_f16_e32 v101, v54, v38
	v_fmac_f16_e32 v16, -0.5, v15
	v_add_f16_e32 v15, v38, v99
	s_delay_alu instid0(VALU_DEP_1) | instskip(SKIP_1) | instid1(VALU_DEP_1)
	v_fmac_f16_e32 v54, -0.5, v15
	v_sub_f16_e32 v15, v38, v99
	v_fmamk_f16 v38, v15, 0xbaee, v16
	v_fmac_f16_e32 v16, 0x3aee, v15
	v_sub_f16_e32 v15, v97, v100
	s_delay_alu instid0(VALU_DEP_1) | instskip(SKIP_1) | instid1(VALU_DEP_2)
	v_fmamk_f16 v97, v15, 0x3aee, v54
	v_fmac_f16_e32 v54, 0xbaee, v15
	v_pack_b32_f16 v38, v38, v97
	s_delay_alu instid0(VALU_DEP_2)
	v_pack_b32_f16 v15, v16, v54
	v_add_f16_e32 v16, v98, v100
	v_add_f16_e32 v54, v101, v99
	;; [unrolled: 1-line block ×3, first 2 shown]
	v_sub_f16_e32 v98, v106, v109
	v_sub_f16_e32 v99, v111, v124
	s_delay_alu instid0(VALU_DEP_4)
	v_pack_b32_f16 v16, v16, v54
	ds_store_2addr_b32 v151, v16, v38 offset1:16
	ds_store_b32 v151, v15 offset:128
	v_lshrrev_b32_e32 v15, 16, v36
	v_add_f16_e32 v16, v104, v107
	v_add_f16_e32 v54, v36, v106
	v_fma_f16 v36, -0.5, v97, v36
	s_delay_alu instid0(VALU_DEP_4) | instskip(NEXT) | instid1(VALU_DEP_4)
	v_add_f16_e32 v38, v15, v104
	v_fmac_f16_e32 v15, -0.5, v16
	v_sub_f16_e32 v16, v104, v107
	v_add_f16_e32 v54, v54, v109
	s_delay_alu instid0(VALU_DEP_4) | instskip(NEXT) | instid1(VALU_DEP_4)
	v_add_f16_e32 v38, v38, v107
	v_fmamk_f16 v97, v98, 0x3aee, v15
	v_fmac_f16_e32 v15, 0xbaee, v98
	s_delay_alu instid0(VALU_DEP_3) | instskip(SKIP_3) | instid1(VALU_DEP_3)
	v_pack_b32_f16 v38, v54, v38
	v_fmamk_f16 v54, v16, 0xbaee, v36
	v_fmac_f16_e32 v36, 0x3aee, v16
	v_lshrrev_b32_e32 v16, 16, v37
	v_pack_b32_f16 v54, v54, v97
	s_delay_alu instid0(VALU_DEP_3)
	v_pack_b32_f16 v15, v36, v15
	v_add_f16_e32 v36, v37, v105
	ds_store_2addr_b32 v145, v38, v54 offset1:16
	ds_store_b32 v145, v15 offset:128
	v_add_f16_e32 v15, v105, v110
	v_add_f16_e32 v38, v16, v103
	s_delay_alu instid0(VALU_DEP_2) | instskip(SKIP_1) | instid1(VALU_DEP_1)
	v_fmac_f16_e32 v37, -0.5, v15
	v_add_f16_e32 v15, v103, v108
	v_fmac_f16_e32 v16, -0.5, v15
	v_sub_f16_e32 v15, v103, v108
	s_delay_alu instid0(VALU_DEP_1) | instskip(SKIP_2) | instid1(VALU_DEP_1)
	v_fmamk_f16 v54, v15, 0xbaee, v37
	v_fmac_f16_e32 v37, 0x3aee, v15
	v_sub_f16_e32 v15, v105, v110
	v_fmamk_f16 v97, v15, 0x3aee, v16
	v_fmac_f16_e32 v16, 0xbaee, v15
	s_delay_alu instid0(VALU_DEP_1) | instskip(SKIP_2) | instid1(VALU_DEP_1)
	v_pack_b32_f16 v15, v37, v16
	v_add_f16_e32 v16, v36, v110
	v_add_f16_e32 v36, v38, v108
	v_pack_b32_f16 v16, v16, v36
	v_pack_b32_f16 v36, v54, v97
	ds_store_2addr_b32 v137, v16, v36 offset1:16
	ds_store_b32 v137, v15 offset:128
	v_add_f16_e32 v15, v114, v123
	v_lshrrev_b32_e32 v16, 16, v96
	v_add_f16_e32 v36, v96, v114
	v_add_f16_e32 v97, v112, v113
	s_delay_alu instid0(VALU_DEP_4) | instskip(SKIP_3) | instid1(VALU_DEP_3)
	v_fmac_f16_e32 v96, -0.5, v15
	v_add_f16_e32 v15, v119, v115
	v_add_f16_e32 v37, v16, v119
	;; [unrolled: 1-line block ×3, first 2 shown]
	v_fmac_f16_e32 v16, -0.5, v15
	v_sub_f16_e32 v15, v119, v115
	s_delay_alu instid0(VALU_DEP_4) | instskip(NEXT) | instid1(VALU_DEP_2)
	v_add_f16_e32 v37, v37, v115
	v_fmamk_f16 v38, v15, 0xbaee, v96
	v_fmac_f16_e32 v96, 0x3aee, v15
	v_sub_f16_e32 v15, v114, v123
	s_delay_alu instid0(VALU_DEP_4) | instskip(NEXT) | instid1(VALU_DEP_2)
	v_pack_b32_f16 v36, v36, v37
	v_fmamk_f16 v54, v15, 0x3aee, v16
	v_fmac_f16_e32 v16, 0xbaee, v15
	v_add_f16_e32 v15, v111, v124
	s_delay_alu instid0(VALU_DEP_3) | instskip(NEXT) | instid1(VALU_DEP_3)
	v_pack_b32_f16 v37, v38, v54
	v_pack_b32_f16 v16, v96, v16
	v_lshrrev_b32_e32 v96, 16, v95
	s_delay_alu instid0(VALU_DEP_4) | instskip(SKIP_1) | instid1(VALU_DEP_3)
	v_fma_f16 v15, -0.5, v15, v95
	v_add_f16_e32 v95, v95, v111
	v_add_f16_e32 v98, v96, v112
	v_fmac_f16_e32 v96, -0.5, v97
	v_sub_f16_e32 v97, v112, v113
	s_delay_alu instid0(VALU_DEP_4) | instskip(NEXT) | instid1(VALU_DEP_4)
	v_add_f16_e32 v95, v95, v124
	v_add_f16_e32 v98, v98, v113
	s_delay_alu instid0(VALU_DEP_4) | instskip(SKIP_1) | instid1(VALU_DEP_3)
	v_fmamk_f16 v100, v99, 0x3aee, v96
	v_fmac_f16_e32 v96, 0xbaee, v99
	v_pack_b32_f16 v95, v95, v98
	v_fmamk_f16 v98, v97, 0xbaee, v15
	v_fmac_f16_e32 v15, 0x3aee, v97
	s_delay_alu instid0(VALU_DEP_2) | instskip(NEXT) | instid1(VALU_DEP_2)
	v_pack_b32_f16 v98, v98, v100
	v_pack_b32_f16 v15, v15, v96
	ds_store_2addr_b32 v126, v95, v98 offset1:16
	ds_store_b32 v126, v15 offset:128
	ds_store_2addr_b32 v125, v36, v37 offset1:16
	ds_store_b32 v125, v16 offset:128
	global_wb scope:SCOPE_SE
	s_wait_dscnt 0x0
	s_barrier_signal -1
	s_barrier_wait -1
	global_inv scope:SCOPE_SE
	ds_load_2addr_b32 v[15:16], v51 offset0:80 offset1:136
	ds_load_2addr_b32 v[36:37], v49 offset0:160 offset1:216
	s_wait_dscnt 0x1
	v_lshrrev_b32_e32 v38, 16, v15
	v_mul_f16_e64 v54, v181, v15
	s_wait_dscnt 0x0
	v_mul_f16_e64 v96, v180, v36
	v_mul_f16_e64 v99, v178, v37
	v_mul_f16_e64 v95, v181, v38
	v_fma_f16 v38, v31, v38, -v54
	v_lshrrev_b32_e32 v54, 16, v36
	s_delay_alu instid0(VALU_DEP_3) | instskip(SKIP_1) | instid1(VALU_DEP_3)
	v_fmac_f16_e32 v95, v31, v15
	v_lshrrev_b32_e32 v31, 16, v16
	v_mul_f16_e64 v97, v180, v54
	v_fma_f16 v54, v32, v54, -v96
	v_lshrrev_b32_e32 v96, 16, v37
	s_delay_alu instid0(VALU_DEP_3) | instskip(SKIP_2) | instid1(VALU_DEP_4)
	v_fmac_f16_e32 v97, v32, v36
	v_mul_f16_e64 v32, v179, v31
	v_mul_f16_e64 v36, v179, v16
	;; [unrolled: 1-line block ×3, first 2 shown]
	s_delay_alu instid0(VALU_DEP_3)
	v_fmac_f16_e32 v32, v25, v16
	ds_load_2addr_b32 v[15:16], v51 offset0:192 offset1:248
	v_fmac_f16_e32 v98, v26, v37
	v_fma_f16 v31, v25, v31, -v36
	v_fma_f16 v36, v26, v96, -v99
	ds_load_2addr_b32 v[25:26], v50 offset0:16 offset1:72
	s_wait_dscnt 0x1
	v_lshrrev_b32_e32 v37, 16, v15
	v_mul_f16_e64 v96, v175, v15
	s_wait_dscnt 0x0
	v_mul_f16_e64 v100, v174, v25
	s_delay_alu instid0(VALU_DEP_3) | instskip(NEXT) | instid1(VALU_DEP_3)
	v_mul_f16_e64 v99, v175, v37
	v_fma_f16 v37, v23, v37, -v96
	v_lshrrev_b32_e32 v96, 16, v25
	v_mul_f16_e64 v103, v172, v26
	s_delay_alu instid0(VALU_DEP_4) | instskip(SKIP_1) | instid1(VALU_DEP_4)
	v_fmac_f16_e32 v99, v23, v15
	v_lshrrev_b32_e32 v23, 16, v16
	v_mul_f16_e64 v101, v174, v96
	v_fma_f16 v96, v24, v96, -v100
	v_lshrrev_b32_e32 v100, 16, v26
	s_delay_alu instid0(VALU_DEP_3) | instskip(SKIP_2) | instid1(VALU_DEP_4)
	v_fmac_f16_e32 v101, v24, v25
	v_mul_f16_e64 v24, v173, v23
	v_mul_f16_e64 v25, v173, v16
	;; [unrolled: 1-line block ×3, first 2 shown]
	s_delay_alu instid0(VALU_DEP_3)
	v_fmac_f16_e32 v24, v21, v16
	ds_load_2addr_b32 v[15:16], v49 offset0:48 offset1:104
	v_fmac_f16_e32 v102, v22, v26
	v_fma_f16 v23, v21, v23, -v25
	v_fma_f16 v25, v22, v100, -v103
	ds_load_2addr_b32 v[21:22], v50 offset0:128 offset1:184
	s_wait_dscnt 0x1
	v_lshrrev_b32_e32 v26, 16, v15
	v_mul_f16_e64 v100, v171, v15
	s_wait_dscnt 0x0
	v_mul_f16_e64 v104, v170, v21
	s_delay_alu instid0(VALU_DEP_3) | instskip(NEXT) | instid1(VALU_DEP_3)
	v_mul_f16_e64 v103, v171, v26
	v_fma_f16 v26, v19, v26, -v100
	v_lshrrev_b32_e32 v100, 16, v21
	v_mul_f16_e64 v107, v168, v22
	s_delay_alu instid0(VALU_DEP_4) | instskip(SKIP_1) | instid1(VALU_DEP_4)
	v_fmac_f16_e32 v103, v19, v15
	v_lshrrev_b32_e32 v15, 16, v16
	v_mul_f16_e64 v105, v170, v100
	v_fma_f16 v100, v20, v100, -v104
	v_mul_f16_e64 v104, v169, v16
	s_delay_alu instid0(VALU_DEP_3) | instskip(SKIP_2) | instid1(VALU_DEP_1)
	v_fmac_f16_e32 v105, v20, v21
	ds_load_2addr_b32 v[19:20], v67 offset1:56
	v_mul_f16_e64 v21, v169, v15
	v_fmac_f16_e32 v21, v17, v16
	v_lshrrev_b32_e32 v16, 16, v22
	s_delay_alu instid0(VALU_DEP_1) | instskip(NEXT) | instid1(VALU_DEP_1)
	v_mul_f16_e64 v106, v168, v16
	v_fmac_f16_e32 v106, v18, v22
	v_fma_f16 v22, v17, v15, -v104
	v_fma_f16 v104, v18, v16, -v107
	s_wait_dscnt 0x0
	v_lshrrev_b32_e32 v17, 16, v19
	v_add_f16_e32 v15, v38, v54
	v_add_f16_e32 v16, v95, v97
	s_delay_alu instid0(VALU_DEP_3) | instskip(NEXT) | instid1(VALU_DEP_3)
	v_add_f16_e32 v18, v17, v38
	v_fmac_f16_e32 v17, -0.5, v15
	v_sub_f16_e32 v38, v38, v54
	v_add_f16_e32 v15, v19, v95
	v_fma_f16 v107, -0.5, v16, v19
	v_sub_f16_e32 v95, v95, v97
	v_add_f16_e32 v16, v18, v54
	s_delay_alu instid0(VALU_DEP_4) | instskip(NEXT) | instid1(VALU_DEP_4)
	v_add_f16_e32 v15, v15, v97
	v_fmamk_f16 v18, v38, 0xbaee, v107
	s_delay_alu instid0(VALU_DEP_4)
	v_fmamk_f16 v19, v95, 0x3aee, v17
	v_fmac_f16_e32 v107, 0x3aee, v38
	v_fmac_f16_e32 v17, 0xbaee, v95
	v_pack_b32_f16 v54, v15, v16
	v_lshrrev_b32_e32 v38, 16, v20
	v_pack_b32_f16 v97, v18, v19
	ds_load_2addr_b32 v[15:16], v35 offset0:96 offset1:152
	ds_load_2addr_b32 v[18:19], v67 offset0:112 offset1:168
	v_add_f16_e32 v35, v32, v98
	global_wb scope:SCOPE_SE
	s_wait_dscnt 0x0
	s_barrier_signal -1
	s_barrier_wait -1
	global_inv scope:SCOPE_SE
	ds_store_2addr_b32 v140, v54, v97 offset1:48
	v_add_f16_e32 v54, v20, v32
	v_fmac_f16_e32 v20, -0.5, v35
	v_add_f16_e32 v35, v31, v36
	v_add_f16_e32 v95, v38, v31
	v_sub_f16_e32 v31, v31, v36
	v_sub_f16_e32 v32, v32, v98
	v_pack_b32_f16 v17, v107, v17
	v_fmac_f16_e32 v38, -0.5, v35
	v_add_f16_e32 v36, v95, v36
	v_fmamk_f16 v35, v31, 0xbaee, v20
	v_fmac_f16_e32 v20, 0x3aee, v31
	ds_store_b32 v140, v17 offset:384
	v_fmamk_f16 v31, v32, 0x3aee, v38
	v_fmac_f16_e32 v38, 0xbaee, v32
	v_add_f16_e32 v17, v99, v101
	v_add_f16_e32 v32, v54, v98
	;; [unrolled: 1-line block ×4, first 2 shown]
	v_pack_b32_f16 v20, v20, v38
	v_lshrrev_b32_e32 v38, 16, v18
	v_fma_f16 v98, -0.5, v17, v18
	v_sub_f16_e32 v17, v37, v96
	s_delay_alu instid0(VALU_DEP_3)
	v_add_f16_e32 v18, v38, v37
	v_fmac_f16_e32 v38, -0.5, v54
	v_sub_f16_e32 v37, v99, v101
	v_add_f16_e32 v99, v95, v101
	v_fmamk_f16 v101, v17, 0xbaee, v98
	v_fmac_f16_e32 v98, 0x3aee, v17
	v_add_f16_e32 v17, v24, v102
	v_add_f16_e32 v107, v18, v96
	v_fmamk_f16 v108, v37, 0x3aee, v38
	v_fmac_f16_e32 v38, 0xbaee, v37
	v_lshrrev_b32_e32 v37, 16, v19
	v_add_f16_e32 v18, v23, v25
	v_add_f16_e32 v54, v19, v24
	v_fmac_f16_e32 v19, -0.5, v17
	v_sub_f16_e32 v17, v23, v25
	v_add_f16_e32 v23, v37, v23
	v_fmac_f16_e32 v37, -0.5, v18
	v_add_f16_e32 v109, v54, v102
	v_sub_f16_e32 v18, v24, v102
	v_fmamk_f16 v24, v17, 0xbaee, v19
	v_fmac_f16_e32 v19, 0x3aee, v17
	v_lshrrev_b32_e32 v54, 16, v15
	v_add_f16_e32 v17, v26, v100
	v_add_f16_e32 v23, v23, v25
	v_fmamk_f16 v25, v18, 0x3aee, v37
	v_fmac_f16_e32 v37, 0xbaee, v18
	v_add_f16_e32 v18, v15, v103
	v_add_f16_e32 v95, v54, v26
	v_fmac_f16_e32 v54, -0.5, v17
	v_add_f16_e32 v17, v103, v105
	v_sub_f16_e32 v26, v26, v100
	v_add_f16_e32 v102, v18, v105
	v_sub_f16_e32 v18, v103, v105
	v_pack_b32_f16 v23, v109, v23
	v_fma_f16 v17, -0.5, v17, v15
	v_add_f16_e32 v15, v21, v106
	v_pack_b32_f16 v24, v24, v25
	v_pack_b32_f16 v19, v19, v37
	s_delay_alu instid0(VALU_DEP_4)
	v_fmamk_f16 v103, v26, 0xbaee, v17
	v_fmac_f16_e32 v17, 0x3aee, v26
	v_add_f16_e32 v26, v95, v100
	v_fmamk_f16 v100, v18, 0x3aee, v54
	v_fmac_f16_e32 v54, 0xbaee, v18
	v_lshrrev_b32_e32 v95, 16, v16
	v_add_f16_e32 v18, v16, v21
	v_fmac_f16_e32 v16, -0.5, v15
	v_add_f16_e32 v15, v22, v104
	v_sub_f16_e32 v21, v21, v106
	v_add_f16_e32 v96, v95, v22
	v_sub_f16_e32 v22, v22, v104
	v_add_f16_e32 v18, v18, v106
	v_fmac_f16_e32 v95, -0.5, v15
	s_delay_alu instid0(VALU_DEP_4) | instskip(NEXT) | instid1(VALU_DEP_4)
	v_add_f16_e32 v97, v96, v104
	v_fmamk_f16 v15, v22, 0xbaee, v16
	v_fmac_f16_e32 v16, 0x3aee, v22
	s_delay_alu instid0(VALU_DEP_4)
	v_fmamk_f16 v96, v21, 0x3aee, v95
	v_fmac_f16_e32 v95, 0xbaee, v21
	v_pack_b32_f16 v21, v32, v36
	v_pack_b32_f16 v22, v35, v31
	;; [unrolled: 1-line block ×5, first 2 shown]
	ds_store_2addr_b32 v121, v21, v22 offset1:48
	ds_store_b32 v121, v20 offset:384
	ds_store_2addr_b32 v122, v31, v32 offset1:48
	ds_store_b32 v122, v35 offset:384
	ds_store_2addr_b32 v116, v23, v24 offset1:48
	v_pack_b32_f16 v20, v102, v26
	v_pack_b32_f16 v21, v103, v100
	;; [unrolled: 1-line block ×6, first 2 shown]
	ds_store_b32 v116, v19 offset:384
	ds_store_2addr_b32 v117, v20, v21 offset1:48
	ds_store_b32 v117, v22 offset:384
	ds_store_2addr_b32 v120, v23, v24 offset1:48
	ds_store_b32 v120, v25 offset:384
	global_wb scope:SCOPE_SE
	s_wait_dscnt 0x0
	s_barrier_signal -1
	s_barrier_wait -1
	global_inv scope:SCOPE_SE
	ds_load_2addr_b32 v[19:20], v67 offset1:56
	ds_load_2addr_b32 v[37:38], v67 offset0:144 offset1:200
	ds_load_2addr_b32 v[35:36], v51 offset0:32 offset1:88
	;; [unrolled: 1-line block ×6, first 2 shown]
	s_and_saveexec_b32 s0, vcc_lo
	s_cbranch_execz .LBB0_7
; %bb.6:
	v_add_nc_u32_e32 v17, 0x100, v67
	ds_load_2addr_b32 v[15:16], v52 offset0:16 offset1:160
	ds_load_2addr_b32 v[33:34], v53 offset0:48 offset1:192
	;; [unrolled: 1-line block ×3, first 2 shown]
	ds_load_b32 v41, v67 offset:3904
	s_wait_dscnt 0x3
	v_lshrrev_b32_e32 v96, 16, v15
	v_lshrrev_b32_e32 v95, 16, v16
	s_wait_dscnt 0x2
	v_lshrrev_b32_e32 v39, 16, v33
	v_lshrrev_b32_e32 v40, 16, v34
	;; [unrolled: 3-line block ×3, first 2 shown]
	s_wait_dscnt 0x0
	v_lshrrev_b32_e32 v42, 16, v41
.LBB0_7:
	s_wait_alu 0xfffe
	s_or_b32 exec_lo, exec_lo, s0
	s_wait_dscnt 0x5
	v_lshrrev_b32_e32 v50, 16, v37
	s_wait_dscnt 0x4
	v_lshrrev_b32_e32 v51, 16, v35
	;; [unrolled: 2-line block ×5, first 2 shown]
	v_mul_f16_e64 v106, v167, v50
	v_mul_f16_e64 v107, v167, v37
	;; [unrolled: 1-line block ×4, first 2 shown]
	s_wait_dscnt 0x0
	v_lshrrev_b32_e32 v99, 16, v21
	v_lshrrev_b32_e32 v101, 16, v38
	v_fmac_f16_e32 v106, v8, v37
	v_fma_f16 v8, v8, v50, -v107
	v_fmac_f16_e32 v108, v9, v35
	v_fma_f16 v9, v9, v51, -v109
	v_mul_f16_e64 v35, v165, v52
	v_mul_f16_e64 v37, v165, v31
	;; [unrolled: 1-line block ×5, first 2 shown]
	v_lshrrev_b32_e32 v102, 16, v36
	v_lshrrev_b32_e32 v103, 16, v32
	;; [unrolled: 1-line block ×3, first 2 shown]
	v_fmac_f16_e32 v35, v10, v31
	v_fma_f16 v10, v10, v52, -v37
	v_fmac_f16_e32 v50, v11, v25
	v_fma_f16 v11, v11, v53, -v51
	v_fmac_f16_e32 v107, v27, v23
	v_mul_f16_e64 v23, v163, v23
	v_mul_f16_e64 v25, v162, v99
	;; [unrolled: 1-line block ×5, first 2 shown]
	v_lshrrev_b32_e32 v105, 16, v24
	v_lshrrev_b32_e32 v110, 16, v22
	v_fma_f16 v23, v27, v98, -v23
	v_fmac_f16_e32 v25, v28, v21
	v_fma_f16 v21, v28, v99, -v31
	v_fmac_f16_e32 v37, v4, v38
	v_fma_f16 v4, v4, v101, -v51
	v_mul_f16_e64 v27, v160, v102
	v_mul_f16_e64 v28, v160, v36
	;; [unrolled: 1-line block ×5, first 2 shown]
	v_fmac_f16_e32 v27, v5, v36
	v_fma_f16 v5, v5, v102, -v28
	v_fmac_f16_e32 v31, v6, v32
	v_fma_f16 v6, v6, v103, -v38
	v_fmac_f16_e32 v51, v7, v26
	v_mul_f16_e64 v26, v158, v26
	v_mul_f16_e64 v28, v157, v105
	;; [unrolled: 1-line block ×5, first 2 shown]
	v_fma_f16 v7, v7, v104, -v26
	v_fmac_f16_e32 v28, v29, v24
	v_fma_f16 v24, v29, v105, -v32
	v_fmac_f16_e32 v36, v30, v22
	v_fma_f16 v22, v30, v110, -v38
	v_add_f16_e32 v26, v106, v25
	v_add_f16_e32 v29, v8, v21
	v_sub_f16_e32 v8, v8, v21
	v_add_f16_e32 v21, v108, v107
	v_add_f16_e32 v30, v9, v23
	v_sub_f16_e32 v25, v106, v25
	v_sub_f16_e32 v32, v108, v107
	;; [unrolled: 1-line block ×3, first 2 shown]
	v_add_f16_e32 v23, v35, v50
	v_add_f16_e32 v38, v10, v11
	v_sub_f16_e32 v35, v50, v35
	v_sub_f16_e32 v10, v11, v10
	v_add_f16_e32 v11, v21, v26
	v_add_f16_e32 v50, v30, v29
	v_lshrrev_b32_e32 v49, 16, v19
	v_sub_f16_e32 v52, v21, v26
	v_sub_f16_e32 v53, v30, v29
	;; [unrolled: 1-line block ×6, first 2 shown]
	v_add_f16_e32 v98, v35, v32
	v_add_f16_e32 v99, v10, v9
	v_sub_f16_e32 v101, v35, v32
	v_sub_f16_e32 v102, v10, v9
	;; [unrolled: 1-line block ×3, first 2 shown]
	v_add_f16_e32 v11, v23, v11
	v_add_f16_e32 v23, v38, v50
	v_sub_f16_e32 v9, v9, v8
	v_sub_f16_e32 v35, v25, v35
	v_sub_f16_e32 v10, v8, v10
	v_add_f16_e32 v25, v98, v25
	v_add_f16_e32 v8, v99, v8
	;; [unrolled: 1-line block ×4, first 2 shown]
	v_mul_f16_e32 v26, 0x3a52, v26
	v_mul_f16_e32 v29, 0x3a52, v29
	;; [unrolled: 1-line block ×8, first 2 shown]
	v_fmamk_f16 v11, v11, 0xbcab, v19
	v_fmamk_f16 v23, v23, 0xbcab, v38
	;; [unrolled: 1-line block ×4, first 2 shown]
	v_fma_f16 v49, v52, 0x39e0, -v49
	v_fma_f16 v50, v53, 0x39e0, -v50
	;; [unrolled: 1-line block ×4, first 2 shown]
	v_fmamk_f16 v52, v35, 0xb574, v98
	v_fmamk_f16 v53, v10, 0xb574, v99
	v_fma_f16 v35, v35, 0x3574, -v101
	v_fma_f16 v10, v10, 0x3574, -v102
	;; [unrolled: 1-line block ×4, first 2 shown]
	v_add_f16_e32 v21, v21, v11
	v_add_f16_e32 v30, v30, v23
	;; [unrolled: 1-line block ×6, first 2 shown]
	v_fmac_f16_e32 v52, 0xb70e, v25
	v_fmac_f16_e32 v10, 0xb70e, v8
	;; [unrolled: 1-line block ×5, first 2 shown]
	v_sub_f16_e32 v25, v30, v52
	v_add_f16_e32 v26, v10, v11
	v_sub_f16_e32 v29, v23, v35
	v_sub_f16_e32 v10, v11, v10
	v_add_f16_e32 v11, v35, v23
	v_add_f16_e32 v23, v52, v30
	;; [unrolled: 1-line block ×4, first 2 shown]
	v_sub_f16_e32 v36, v37, v36
	v_sub_f16_e32 v4, v4, v22
	v_add_f16_e32 v22, v27, v28
	v_add_f16_e32 v37, v5, v24
	v_fmac_f16_e32 v53, 0xb70e, v8
	v_sub_f16_e32 v98, v49, v9
	v_add_f16_e32 v9, v9, v49
	v_sub_f16_e32 v27, v27, v28
	v_sub_f16_e32 v5, v5, v24
	v_add_f16_e32 v24, v31, v51
	v_add_f16_e32 v28, v6, v7
	v_sub_f16_e32 v31, v51, v31
	v_sub_f16_e32 v6, v7, v6
	v_add_f16_e32 v7, v22, v30
	v_add_f16_e32 v49, v37, v35
	v_lshrrev_b32_e32 v100, 16, v20
	v_add_f16_e32 v8, v53, v21
	v_add_f16_e32 v99, v32, v50
	v_sub_f16_e32 v32, v50, v32
	v_sub_f16_e32 v21, v21, v53
	;; [unrolled: 1-line block ×8, first 2 shown]
	v_add_f16_e32 v52, v31, v27
	v_add_f16_e32 v53, v6, v5
	v_sub_f16_e32 v101, v31, v27
	v_sub_f16_e32 v102, v6, v5
	v_add_f16_e32 v7, v24, v7
	v_add_f16_e32 v24, v28, v49
	v_sub_f16_e32 v27, v27, v36
	v_sub_f16_e32 v5, v5, v4
	v_sub_f16_e32 v31, v36, v31
	v_sub_f16_e32 v6, v4, v6
	v_add_f16_e32 v28, v52, v36
	v_add_f16_e32 v4, v53, v4
	v_add_f16_e32 v20, v20, v7
	v_add_f16_e32 v36, v100, v24
	v_mul_f16_e32 v30, 0x3a52, v30
	v_mul_f16_e32 v35, 0x3a52, v35
	;; [unrolled: 1-line block ×8, first 2 shown]
	v_fmamk_f16 v7, v7, 0xbcab, v20
	v_fmamk_f16 v24, v24, 0xbcab, v36
	;; [unrolled: 1-line block ×4, first 2 shown]
	v_fma_f16 v49, v50, 0x39e0, -v49
	v_fma_f16 v52, v51, 0x39e0, -v52
	;; [unrolled: 1-line block ×4, first 2 shown]
	v_fmamk_f16 v50, v31, 0xb574, v53
	v_fmamk_f16 v51, v6, 0xb574, v100
	v_fma_f16 v31, v31, 0x3574, -v101
	v_fma_f16 v6, v6, 0x3574, -v102
	;; [unrolled: 1-line block ×4, first 2 shown]
	v_add_f16_e32 v22, v22, v7
	v_add_f16_e32 v37, v37, v24
	v_fmac_f16_e32 v50, 0xb70e, v28
	v_fmac_f16_e32 v51, 0xb70e, v4
	v_add_f16_e32 v49, v49, v7
	v_add_f16_e32 v52, v52, v24
	;; [unrolled: 1-line block ×4, first 2 shown]
	v_fmac_f16_e32 v6, 0xb70e, v4
	v_fmac_f16_e32 v31, 0xb70e, v28
	;; [unrolled: 1-line block ×4, first 2 shown]
	v_add_f16_e32 v4, v51, v22
	v_sub_f16_e32 v28, v37, v50
	v_add_f16_e32 v30, v6, v7
	v_sub_f16_e32 v35, v24, v31
	v_pack_b32_f16 v8, v8, v25
	v_sub_f16_e32 v53, v49, v5
	v_add_f16_e32 v100, v27, v52
	v_pack_b32_f16 v25, v26, v29
	v_add_f16_e32 v5, v5, v49
	v_sub_f16_e32 v27, v52, v27
	v_pack_b32_f16 v26, v98, v99
	v_sub_f16_e32 v6, v7, v6
	v_add_f16_e32 v7, v31, v24
	v_pack_b32_f16 v9, v9, v32
	v_sub_f16_e32 v22, v22, v51
	v_add_f16_e32 v24, v50, v37
	v_pack_b32_f16 v10, v10, v11
	v_pack_b32_f16 v4, v4, v28
	v_pack_b32_f16 v19, v19, v38
	v_pack_b32_f16 v11, v21, v23
	v_pack_b32_f16 v20, v20, v36
	ds_store_b32 v67, v8 offset:576
	ds_store_b32 v67, v25 offset:1152
	;; [unrolled: 1-line block ×6, first 2 shown]
	ds_store_2addr_b32 v67, v19, v20 offset1:56
	v_pack_b32_f16 v8, v30, v35
	v_pack_b32_f16 v9, v53, v100
	;; [unrolled: 1-line block ×5, first 2 shown]
	ds_store_b32 v67, v4 offset:800
	ds_store_b32 v67, v8 offset:1376
	;; [unrolled: 1-line block ×6, first 2 shown]
	s_and_saveexec_b32 s0, vcc_lo
	s_cbranch_execz .LBB0_9
; %bb.8:
	v_mul_f16_e32 v4, v47, v97
	v_mul_f16_e32 v7, v45, v96
	;; [unrolled: 1-line block ×5, first 2 shown]
	v_fmac_f16_e32 v4, v0, v18
	v_fmac_f16_e32 v7, v1, v15
	v_mul_f16_e32 v19, v48, v41
	v_mul_f16_e32 v18, v47, v18
	;; [unrolled: 1-line block ×5, first 2 shown]
	v_fmac_f16_e32 v6, v2, v16
	v_fmac_f16_e32 v8, v13, v34
	;; [unrolled: 1-line block ×3, first 2 shown]
	v_fma_f16 v14, v14, v42, -v19
	v_fma_f16 v0, v0, v97, -v18
	v_mul_f16_e32 v16, v43, v16
	v_mul_f16_e32 v18, v44, v33
	v_fma_f16 v13, v13, v40, -v22
	v_fma_f16 v1, v1, v96, -v15
	v_fmac_f16_e32 v5, v3, v33
	v_add_f16_e32 v15, v14, v0
	v_fma_f16 v2, v2, v95, -v16
	v_fma_f16 v3, v3, v39, -v18
	v_add_f16_e32 v16, v13, v1
	v_sub_f16_e32 v11, v7, v8
	v_sub_f16_e32 v20, v4, v9
	v_add_f16_e32 v4, v9, v4
	v_add_f16_e32 v22, v3, v2
	;; [unrolled: 1-line block ×4, first 2 shown]
	v_sub_f16_e32 v10, v5, v6
	v_add_f16_e32 v5, v5, v6
	v_sub_f16_e32 v24, v15, v22
	v_add_f16_e32 v23, v22, v23
	;; [unrolled: 2-line block ×3, first 2 shown]
	v_sub_f16_e32 v2, v3, v2
	v_sub_f16_e32 v1, v1, v13
	;; [unrolled: 1-line block ×5, first 2 shown]
	v_add_f16_e32 v22, v5, v22
	v_sub_f16_e32 v14, v2, v1
	v_sub_f16_e32 v19, v20, v10
	v_add_f16_e32 v10, v10, v11
	v_mul_f16_e32 v9, 0x3a52, v24
	v_mul_f16_e32 v3, 0x3a52, v25
	v_sub_f16_e32 v5, v5, v7
	v_sub_f16_e32 v25, v0, v2
	;; [unrolled: 1-line block ×3, first 2 shown]
	v_add_f16_e32 v2, v2, v1
	v_sub_f16_e32 v15, v16, v15
	v_sub_f16_e32 v1, v1, v0
	v_mul_f16_e32 v21, 0x3846, v21
	v_add_f16_e32 v6, v54, v23
	v_mul_f16_e32 v24, 0x2b26, v8
	v_add_f16_e32 v13, v17, v22
	v_mul_f16_e32 v14, 0x3846, v14
	v_fmamk_f16 v8, v8, 0x2b26, v9
	v_fmamk_f16 v17, v5, 0x2b26, v3
	v_mul_f16_e32 v5, 0x2b26, v5
	v_mul_f16_e32 v27, 0xbb00, v11
	v_sub_f16_e32 v4, v7, v4
	v_fma_f16 v7, v15, 0xb9e0, -v9
	v_mul_f16_e32 v9, 0xbb00, v1
	v_fmamk_f16 v18, v19, 0xb574, v21
	v_add_f16_e32 v10, v10, v20
	v_fmamk_f16 v23, v23, 0xbcab, v6
	v_fmamk_f16 v22, v22, 0xbcab, v13
	;; [unrolled: 1-line block ×3, first 2 shown]
	v_add_f16_e32 v0, v2, v0
	v_fma_f16 v15, v15, 0x39e0, -v24
	v_fma_f16 v11, v11, 0xbb00, -v21
	;; [unrolled: 1-line block ×7, first 2 shown]
	v_fmac_f16_e32 v18, 0xb70e, v10
	v_add_f16_e32 v8, v8, v23
	v_add_f16_e32 v17, v17, v22
	v_fmac_f16_e32 v20, 0xb70e, v0
	v_add_f16_e32 v5, v15, v23
	v_fmac_f16_e32 v11, 0xb70e, v10
	v_fmac_f16_e32 v2, 0xb70e, v10
	v_add_f16_e32 v7, v7, v23
	v_add_f16_e32 v3, v3, v22
	v_fmac_f16_e32 v9, 0xb70e, v0
	v_fmac_f16_e32 v1, 0xb70e, v0
	v_add_f16_e32 v0, v4, v22
	v_add_f16_e32 v26, v18, v8
	v_sub_f16_e32 v15, v5, v11
	v_add_f16_e32 v5, v11, v5
	v_sub_f16_e32 v8, v8, v18
	v_add_f16_e32 v11, v20, v17
	v_add_f16_e32 v10, v2, v7
	v_sub_f16_e32 v14, v3, v9
	v_add_f16_e32 v16, v1, v0
	v_sub_f16_e32 v2, v7, v2
	;; [unrolled: 2-line block ×3, first 2 shown]
	v_sub_f16_e32 v4, v17, v20
	v_pack_b32_f16 v1, v13, v6
	v_pack_b32_f16 v6, v11, v8
	v_add_nc_u32_e32 v7, 0x100, v67
	v_pack_b32_f16 v2, v3, v2
	v_pack_b32_f16 v0, v0, v5
	v_add_nc_u32_e32 v3, 0x600, v67
	;; [unrolled: 3-line block ×3, first 2 shown]
	v_pack_b32_f16 v4, v4, v26
	ds_store_2addr_b32 v7, v1, v6 offset0:48 offset1:192
	ds_store_2addr_b32 v3, v2, v0 offset0:16 offset1:160
	;; [unrolled: 1-line block ×3, first 2 shown]
	ds_store_b32 v67, v4 offset:3904
.LBB0_9:
	s_wait_alu 0xfffe
	s_or_b32 exec_lo, exec_lo, s0
	global_wb scope:SCOPE_SE
	s_wait_dscnt 0x0
	s_barrier_signal -1
	s_barrier_wait -1
	global_inv scope:SCOPE_SE
	ds_load_2addr_b32 v[4:5], v67 offset1:56
	v_mad_co_u64_u32 v[19:20], null, s4, v84, 0
	v_add_nc_u32_e32 v3, 0x400, v67
	s_mov_b32 s8, 0x10410410
	s_mov_b32 s9, 0x3f504104
	s_wait_dscnt 0x0
	v_lshrrev_b32_e32 v2, 16, v4
	v_mul_f16_e32 v6, v94, v4
	v_lshrrev_b32_e32 v15, 16, v5
	s_delay_alu instid0(VALU_DEP_3) | instskip(NEXT) | instid1(VALU_DEP_3)
	v_mul_f16_e32 v7, v94, v2
	v_fma_f16 v2, v91, v2, -v6
	s_delay_alu instid0(VALU_DEP_3) | instskip(NEXT) | instid1(VALU_DEP_3)
	v_mul_f16_e32 v10, v92, v15
	v_fmac_f16_e32 v7, v91, v4
	s_delay_alu instid0(VALU_DEP_3) | instskip(NEXT) | instid1(VALU_DEP_3)
	v_cvt_f32_f16_e32 v2, v2
	v_fmac_f16_e32 v10, v89, v5
	v_mul_f16_e32 v5, v92, v5
	s_delay_alu instid0(VALU_DEP_4) | instskip(NEXT) | instid1(VALU_DEP_4)
	v_cvt_f32_f16_e32 v9, v7
	v_cvt_f64_f32_e32 v[6:7], v2
	s_delay_alu instid0(VALU_DEP_4) | instskip(NEXT) | instid1(VALU_DEP_4)
	v_cvt_f32_f16_e32 v13, v10
	v_fma_f16 v5, v89, v15, -v5
	v_mad_co_u64_u32 v[15:16], null, s6, v12, 0
	s_delay_alu instid0(VALU_DEP_2) | instskip(NEXT) | instid1(VALU_DEP_1)
	v_cvt_f32_f16_e32 v5, v5
	v_cvt_f64_f32_e32 v[21:22], v5
	s_wait_alu 0xfffe
	v_mul_f64_e32 v[5:6], s[8:9], v[6:7]
	s_delay_alu instid0(VALU_DEP_4)
	v_dual_mov_b32 v7, v16 :: v_dual_mov_b32 v16, v20
	ds_load_2addr_b32 v[0:1], v3 offset0:192 offset1:248
	v_mul_f64_e32 v[21:22], s[8:9], v[21:22]
	s_wait_dscnt 0x0
	v_lshrrev_b32_e32 v4, 16, v1
	v_mul_f16_e32 v8, v93, v1
	s_delay_alu instid0(VALU_DEP_1) | instskip(SKIP_2) | instid1(VALU_DEP_3)
	v_fma_f16 v2, v90, v4, -v8
	v_cvt_f64_f32_e32 v[8:9], v9
	v_mul_f16_e32 v4, v93, v4
	v_cvt_f32_f16_e32 v2, v2
	s_delay_alu instid0(VALU_DEP_2) | instskip(SKIP_1) | instid1(VALU_DEP_3)
	v_fmac_f16_e32 v4, v90, v1
	v_and_or_b32 v5, 0x1ff, v6, v5
	v_cvt_f64_f32_e32 v[10:11], v2
	v_cvt_f64_f32_e32 v[1:2], v13
	s_delay_alu instid0(VALU_DEP_4) | instskip(NEXT) | instid1(VALU_DEP_1)
	v_cvt_f32_f16_e32 v4, v4
	v_cvt_f64_f32_e32 v[13:14], v4
	v_add_nc_u32_e32 v4, 0x800, v67
	ds_load_2addr_b32 v[17:18], v4 offset0:48 offset1:104
	v_mul_f64_e32 v[8:9], s[8:9], v[8:9]
	v_mul_f64_e32 v[10:11], s[8:9], v[10:11]
	s_delay_alu instid0(VALU_DEP_2)
	v_mad_co_u64_u32 v[23:24], null, s7, v12, v[7:8]
	s_wait_dscnt 0x0
	v_mad_co_u64_u32 v[24:25], null, s5, v84, v[16:17]
	v_lshrrev_b32_e32 v7, 16, v17
	v_mul_f64_e32 v[25:26], s[8:9], v[1:2]
	v_mul_f64_e32 v[12:13], s[8:9], v[13:14]
	v_and_or_b32 v8, 0x1ff, v9, v8
	v_mov_b32_e32 v16, v23
	v_mul_f16_e32 v23, v88, v7
	v_and_or_b32 v10, 0x1ff, v11, v10
	v_bfe_u32 v27, v9, 20, 11
	v_bfe_u32 v30, v11, 20, 11
	v_lshlrev_b64_e32 v[1:2], 2, v[15:16]
	v_fmac_f16_e32 v23, v86, v17
	v_lshrrev_b32_e32 v29, 8, v11
	v_sub_nc_u32_e32 v33, 0x3f1, v27
	v_sub_nc_u32_e32 v35, 0x3f1, v30
	v_add_nc_u32_e32 v30, 0xfffffc10, v30
	v_cvt_f32_f16_e32 v16, v23
	v_bfe_u32 v23, v6, 20, 11
	v_mov_b32_e32 v20, v24
	v_add_co_u32 v1, vcc_lo, s2, v1
	s_wait_alu 0xfffd
	v_add_co_ci_u32_e32 v2, vcc_lo, s3, v2, vcc_lo
	v_sub_nc_u32_e32 v28, 0x3f1, v23
	v_add_nc_u32_e32 v23, 0xfffffc10, v23
	v_lshlrev_b64_e32 v[14:15], 2, v[19:20]
	v_cvt_f64_f32_e32 v[19:20], v16
	v_lshrrev_b32_e32 v16, 8, v6
	v_lshrrev_b32_e32 v24, 8, v9
	;; [unrolled: 1-line block ×4, first 2 shown]
	v_add_co_u32 v14, vcc_lo, v1, v14
	s_wait_alu 0xfffd
	v_add_co_ci_u32_e32 v15, vcc_lo, v2, v15, vcc_lo
	v_cmp_ne_u32_e32 vcc_lo, 0, v5
	s_mul_u64 s[6:7], s[4:5], 0x7e0
	s_wait_alu 0xfffd
	v_cndmask_b32_e64 v5, 0, 1, vcc_lo
	v_cmp_ne_u32_e32 vcc_lo, 0, v8
	v_and_or_b32 v25, 0x1ff, v26, v25
	v_and_or_b32 v12, 0x1ff, v13, v12
	v_bfe_u32 v34, v13, 20, 11
	v_and_or_b32 v5, 0xffe, v16, v5
	s_wait_alu 0xfffd
	v_cndmask_b32_e64 v8, 0, 1, vcc_lo
	v_cmp_ne_u32_e32 vcc_lo, 0, v10
	v_med3_i32 v16, v28, 0, 13
	v_lshrrev_b32_e32 v28, 8, v13
	v_lshl_or_b32 v36, v23, 12, v5
	v_and_or_b32 v8, 0xffe, v24, v8
	s_wait_alu 0xfffd
	v_cndmask_b32_e64 v10, 0, 1, vcc_lo
	v_cmp_ne_u32_e32 vcc_lo, 0, v25
	v_med3_i32 v24, v33, 0, 13
	v_or_b32_e32 v33, 0x1000, v5
	v_add_nc_u32_e32 v27, 0xfffffc10, v27
	v_and_or_b32 v10, 0xffe, v29, v10
	s_wait_alu 0xfffd
	v_cndmask_b32_e64 v25, 0, 1, vcc_lo
	v_cmp_ne_u32_e32 vcc_lo, 0, v5
	v_med3_i32 v29, v35, 0, 13
	v_or_b32_e32 v35, 0x1000, v8
	v_lshrrev_b32_e32 v39, v16, v33
	v_sub_nc_u32_e32 v37, 0x3f1, v34
	s_wait_alu 0xfffd
	v_cndmask_b32_e64 v5, 0, 1, vcc_lo
	v_cmp_ne_u32_e32 vcc_lo, 0, v12
	v_lshrrev_b32_e32 v41, v24, v35
	v_lshlrev_b32_e32 v16, v16, v39
	v_lshl_or_b32 v38, v27, 12, v8
	v_add_nc_u32_e32 v34, 0xfffffc10, v34
	s_wait_alu 0xfffd
	v_cndmask_b32_e64 v12, 0, 1, vcc_lo
	v_cmp_ne_u32_e32 vcc_lo, 0, v8
	v_lshlrev_b32_e32 v24, v24, v41
	v_lshl_or_b32 v40, v30, 12, v10
	v_cmp_gt_i32_e64 s3, 1, v34
	v_and_or_b32 v12, 0xffe, v28, v12
	s_wait_alu 0xfffd
	v_cndmask_b32_e64 v8, 0, 1, vcc_lo
	v_med3_i32 v28, v37, 0, 13
	v_or_b32_e32 v37, 0x1000, v10
	v_cmp_ne_u32_e32 vcc_lo, v16, v33
	v_or_b32_e32 v42, 0x1000, v12
	v_lshl_or_b32 v43, v34, 12, v12
	v_lshl_or_b32 v8, v8, 9, 0x7c00
	v_lshrrev_b32_e32 v44, v29, v37
	s_wait_alu 0xfffd
	v_cndmask_b32_e64 v16, 0, 1, vcc_lo
	v_cmp_ne_u32_e32 vcc_lo, v24, v35
	v_lshrrev_b32_e32 v33, v28, v42
	v_lshl_or_b32 v5, v5, 9, 0x7c00
	v_lshlrev_b32_e32 v29, v29, v44
	v_or_b32_e32 v16, v39, v16
	s_wait_alu 0xfffd
	v_cndmask_b32_e64 v24, 0, 1, vcc_lo
	v_cmp_ne_u32_e32 vcc_lo, 0, v12
	v_lshlrev_b32_e32 v28, v28, v33
	v_lshrrev_b32_e32 v31, 8, v26
	v_bfe_u32 v32, v26, 20, 11
	v_or_b32_e32 v24, v41, v24
	s_wait_alu 0xfffd
	v_cndmask_b32_e64 v12, 0, 1, vcc_lo
	v_cmp_ne_u32_e32 vcc_lo, v29, v37
	s_delay_alu instid0(VALU_DEP_2) | instskip(SKIP_3) | instid1(VALU_DEP_2)
	v_lshl_or_b32 v12, v12, 9, 0x7c00
	s_wait_alu 0xfffd
	v_cndmask_b32_e64 v29, 0, 1, vcc_lo
	v_cmp_gt_i32_e32 vcc_lo, 1, v23
	v_or_b32_e32 v29, v44, v29
	s_wait_alu 0xfffd
	v_cndmask_b32_e32 v16, v36, v16, vcc_lo
	v_cmp_gt_i32_e32 vcc_lo, 1, v27
	s_delay_alu instid0(VALU_DEP_2)
	v_and_b32_e32 v35, 7, v16
	s_wait_alu 0xfffd
	v_cndmask_b32_e32 v24, v38, v24, vcc_lo
	v_cmp_ne_u32_e32 vcc_lo, v28, v42
	v_lshrrev_b32_e32 v16, 2, v16
	v_cmp_lt_i32_e64 s1, 5, v35
	s_delay_alu instid0(VALU_DEP_4)
	v_and_b32_e32 v36, 7, v24
	s_wait_alu 0xfffd
	v_cndmask_b32_e64 v28, 0, 1, vcc_lo
	v_cmp_gt_i32_e32 vcc_lo, 1, v30
	v_lshrrev_b32_e32 v24, 2, v24
	v_cmp_eq_u32_e64 s2, 3, v35
	v_cmp_eq_u32_e64 s0, 3, v36
	v_or_b32_e32 v28, v33, v28
	s_wait_alu 0xfffd
	v_cndmask_b32_e32 v29, v40, v29, vcc_lo
	v_cmp_lt_i32_e32 vcc_lo, 5, v36
	s_wait_alu 0xf1ff
	v_cndmask_b32_e64 v28, v43, v28, s3
	s_or_b32 vcc_lo, s0, vcc_lo
	v_cmp_eq_u32_e64 s0, 0x40f, v27
	s_wait_alu 0xfffe
	v_add_co_ci_u32_e32 v24, vcc_lo, 0, v24, vcc_lo
	s_or_b32 vcc_lo, s2, s1
	v_and_b32_e32 v33, 7, v28
	s_wait_alu 0xfffe
	v_add_co_ci_u32_e32 v16, vcc_lo, 0, v16, vcc_lo
	v_cmp_gt_i32_e32 vcc_lo, 31, v27
	v_cmp_eq_u32_e64 s1, 0x40f, v23
	s_movk_i32 s2, 0xf900
	s_mov_b32 s3, -1
	s_wait_alu 0xfffd
	v_cndmask_b32_e32 v24, 0x7c00, v24, vcc_lo
	v_cmp_gt_i32_e32 vcc_lo, 31, v23
	v_and_or_b32 v23, 0xffe, v31, v25
	s_wait_alu 0xfffe
	s_mul_u64 s[2:3], s[4:5], s[2:3]
	v_cndmask_b32_e64 v8, v24, v8, s0
	s_wait_alu 0xfffd
	v_cndmask_b32_e32 v16, 0x7c00, v16, vcc_lo
	v_cmp_lt_i32_e32 vcc_lo, 5, v33
	v_cmp_eq_u32_e64 s0, 3, v33
	v_lshrrev_b32_e32 v24, 2, v28
	v_and_or_b32 v8, 0x8000, v9, v8
	v_cndmask_b32_e64 v5, v16, v5, s1
	v_cmp_eq_u32_e64 s1, 0x40f, v34
	s_or_b32 vcc_lo, s0, vcc_lo
	s_wait_alu 0xfffe
	v_add_co_ci_u32_e32 v9, vcc_lo, 0, v24, vcc_lo
	v_and_or_b32 v5, 0x8000, v6, v5
	v_and_b32_e32 v6, 0xffff, v8
	v_and_b32_e32 v8, 7, v29
	v_cmp_gt_i32_e32 vcc_lo, 31, v34
	s_delay_alu instid0(VALU_DEP_3) | instskip(NEXT) | instid1(VALU_DEP_3)
	v_lshl_or_b32 v16, v5, 16, v6
	v_cmp_eq_u32_e64 s0, 3, v8
	s_wait_alu 0xfffd
	v_cndmask_b32_e32 v9, 0x7c00, v9, vcc_lo
	v_cmp_lt_i32_e32 vcc_lo, 5, v8
	v_lshrrev_b32_e32 v8, 2, v29
	v_sub_nc_u32_e32 v5, 0x3f1, v32
	global_store_b32 v[14:15], v16, off
	v_cndmask_b32_e64 v6, v9, v12, s1
	s_or_b32 vcc_lo, s0, vcc_lo
	v_or_b32_e32 v9, 0x1000, v23
	s_wait_alu 0xfffe
	v_add_co_ci_u32_e32 v8, vcc_lo, 0, v8, vcc_lo
	v_med3_i32 v5, v5, 0, 13
	v_cmp_ne_u32_e32 vcc_lo, 0, v10
	v_lshrrev_b32_e32 v12, 16, v13
	s_delay_alu instid0(VALU_DEP_3)
	v_lshrrev_b32_e32 v13, v5, v9
	s_wait_alu 0xfffd
	v_cndmask_b32_e64 v10, 0, 1, vcc_lo
	v_cmp_gt_i32_e32 vcc_lo, 31, v30
	v_and_or_b32 v12, 0x8000, v12, v6
	v_mul_f16_e32 v6, v88, v17
	v_lshlrev_b32_e32 v5, v5, v13
	v_lshl_or_b32 v10, v10, 9, 0x7c00
	s_wait_alu 0xfffd
	v_cndmask_b32_e32 v8, 0x7c00, v8, vcc_lo
	v_cmp_eq_u32_e32 vcc_lo, 0x40f, v30
	v_fma_f16 v6, v86, v7, -v6
	v_and_or_b32 v7, 0x1ff, v22, v21
	s_wait_alu 0xfffd
	v_dual_cndmask_b32 v8, v8, v10 :: v_dual_add_nc_u32 v17, 0xfffffc10, v32
	v_cmp_ne_u32_e32 vcc_lo, v5, v9
	v_lshrrev_b32_e32 v10, 16, v11
	s_delay_alu instid0(VALU_DEP_3)
	v_lshl_or_b32 v11, v17, 12, v23
	s_wait_alu 0xfffd
	v_cndmask_b32_e64 v5, 0, 1, vcc_lo
	v_cmp_ne_u32_e32 vcc_lo, 0, v7
	v_and_or_b32 v9, 0x8000, v10, v8
	v_cvt_f32_f16_e32 v8, v6
	s_delay_alu instid0(VALU_DEP_4)
	v_or_b32_e32 v10, v13, v5
	s_wait_alu 0xfffd
	v_cndmask_b32_e64 v13, 0, 1, vcc_lo
	v_mul_f64_e32 v[5:6], s[8:9], v[19:20]
	v_cmp_gt_i32_e32 vcc_lo, 1, v17
	v_lshrrev_b32_e32 v19, 8, v22
	v_bfe_u32 v20, v22, 20, 11
	v_cvt_f64_f32_e32 v[7:8], v8
	v_lshrrev_b32_e32 v22, 16, v22
	s_wait_alu 0xfffd
	v_dual_cndmask_b32 v10, v11, v10 :: v_dual_and_b32 v11, 0xffff, v12
	v_and_or_b32 v19, 0xffe, v19, v13
	v_sub_nc_u32_e32 v12, 0x3f1, v20
	s_delay_alu instid0(VALU_DEP_3) | instskip(NEXT) | instid1(VALU_DEP_4)
	v_and_b32_e32 v13, 7, v10
	v_lshl_or_b32 v21, v9, 16, v11
	s_delay_alu instid0(VALU_DEP_4) | instskip(NEXT) | instid1(VALU_DEP_4)
	v_or_b32_e32 v16, 0x1000, v19
	v_med3_i32 v24, v12, 0, 13
	v_add_co_u32 v11, s1, v14, s6
	v_cmp_lt_i32_e32 vcc_lo, 5, v13
	v_cmp_eq_u32_e64 s0, 3, v13
	v_lshrrev_b32_e32 v13, 2, v10
	v_lshrrev_b32_e32 v25, v24, v16
	ds_load_2addr_b32 v[9:10], v67 offset0:112 offset1:168
	s_wait_alu 0xf1ff
	v_add_co_ci_u32_e64 v12, s1, s7, v15, s1
	s_or_b32 vcc_lo, s0, vcc_lo
	v_lshlrev_b32_e32 v14, v24, v25
	s_wait_alu 0xfffe
	v_add_co_ci_u32_e32 v13, vcc_lo, 0, v13, vcc_lo
	v_cmp_ne_u32_e32 vcc_lo, 0, v23
	s_wait_alu 0xfffd
	v_cndmask_b32_e64 v15, 0, 1, vcc_lo
	v_cmp_ne_u32_e32 vcc_lo, v14, v16
	v_add_nc_u32_e32 v16, 0xfffffc10, v20
	v_and_or_b32 v5, 0x1ff, v6, v5
	s_wait_alu 0xfffd
	v_cndmask_b32_e64 v14, 0, 1, vcc_lo
	v_cmp_gt_i32_e32 vcc_lo, 31, v17
	v_lshl_or_b32 v20, v16, 12, v19
	v_mul_f64_e32 v[7:8], s[8:9], v[7:8]
	s_wait_dscnt 0x0
	v_lshrrev_b32_e32 v23, 16, v9
	v_or_b32_e32 v14, v25, v14
	s_wait_alu 0xfffd
	v_cndmask_b32_e32 v13, 0x7c00, v13, vcc_lo
	v_cmp_gt_i32_e32 vcc_lo, 1, v16
	v_lshl_or_b32 v15, v15, 9, 0x7c00
	v_mul_f16_e32 v24, v87, v23
	v_bfe_u32 v25, v6, 20, 11
	s_wait_alu 0xfffd
	v_cndmask_b32_e32 v14, v20, v14, vcc_lo
	v_cmp_ne_u32_e32 vcc_lo, 0, v5
	v_lshrrev_b32_e32 v20, 8, v6
	v_fmac_f16_e32 v24, v83, v9
	v_mul_f16_e32 v9, v87, v9
	v_lshrrev_b32_e32 v27, 2, v14
	s_wait_alu 0xfffd
	v_cndmask_b32_e64 v5, 0, 1, vcc_lo
	v_cmp_eq_u32_e32 vcc_lo, 0x40f, v17
	v_sub_nc_u32_e32 v17, 0x3f1, v25
	v_cvt_f32_f16_e32 v24, v24
	v_fma_f16 v9, v83, v23, -v9
	v_and_or_b32 v5, 0xffe, v20, v5
	s_wait_alu 0xfffd
	v_cndmask_b32_e32 v15, v13, v15, vcc_lo
	v_and_b32_e32 v13, 7, v14
	v_lshrrev_b32_e32 v20, 16, v26
	v_med3_i32 v17, v17, 0, 13
	v_or_b32_e32 v26, 0x1000, v5
	v_add_nc_u32_e32 v23, 0xfffffc10, v25
	v_cmp_lt_i32_e32 vcc_lo, 5, v13
	v_cmp_eq_u32_e64 s0, 3, v13
	v_cvt_f64_f32_e32 v[13:14], v24
	v_and_or_b32 v20, 0x8000, v20, v15
	v_lshrrev_b32_e32 v15, v17, v26
	v_cvt_f32_f16_e32 v9, v9
	s_or_b32 vcc_lo, s0, vcc_lo
	s_wait_alu 0xfffe
	v_add_co_ci_u32_e32 v24, vcc_lo, 0, v27, vcc_lo
	v_cmp_ne_u32_e32 vcc_lo, 0, v19
	v_lshlrev_b32_e32 v17, v17, v15
	v_and_or_b32 v7, 0x1ff, v8, v7
	v_bfe_u32 v25, v8, 20, 11
	s_wait_alu 0xfffd
	v_cndmask_b32_e64 v19, 0, 1, vcc_lo
	v_cmp_gt_i32_e32 vcc_lo, 31, v16
	s_delay_alu instid0(VALU_DEP_2)
	v_lshl_or_b32 v19, v19, 9, 0x7c00
	s_wait_alu 0xfffd
	v_cndmask_b32_e32 v24, 0x7c00, v24, vcc_lo
	v_cmp_ne_u32_e32 vcc_lo, v17, v26
	s_wait_alu 0xfffd
	v_cndmask_b32_e64 v17, 0, 1, vcc_lo
	v_cmp_eq_u32_e32 vcc_lo, 0x40f, v16
	s_delay_alu instid0(VALU_DEP_2)
	v_or_b32_e32 v17, v15, v17
	s_wait_alu 0xfffd
	v_cndmask_b32_e32 v19, v24, v19, vcc_lo
	v_cmp_ne_u32_e32 vcc_lo, 0, v7
	v_lshl_or_b32 v24, v23, 12, v5
	v_cvt_f64_f32_e32 v[15:16], v9
	v_lshrrev_b32_e32 v9, 8, v8
	v_and_or_b32 v19, 0x8000, v22, v19
	s_wait_alu 0xfffd
	v_cndmask_b32_e64 v7, 0, 1, vcc_lo
	v_cmp_gt_i32_e32 vcc_lo, 1, v23
	v_mul_f64_e32 v[13:14], s[8:9], v[13:14]
	v_lshrrev_b32_e32 v8, 16, v8
	s_delay_alu instid0(VALU_DEP_4) | instskip(SKIP_3) | instid1(VALU_DEP_3)
	v_and_or_b32 v7, 0xffe, v9, v7
	s_wait_alu 0xfffd
	v_cndmask_b32_e32 v17, v24, v17, vcc_lo
	v_sub_nc_u32_e32 v9, 0x3f1, v25
	v_or_b32_e32 v24, 0x1000, v7
	s_delay_alu instid0(VALU_DEP_3) | instskip(SKIP_1) | instid1(VALU_DEP_4)
	v_and_b32_e32 v22, 7, v17
	v_lshrrev_b32_e32 v17, 2, v17
	v_med3_i32 v9, v9, 0, 13
	s_delay_alu instid0(VALU_DEP_3) | instskip(SKIP_2) | instid1(VALU_DEP_2)
	v_cmp_lt_i32_e32 vcc_lo, 5, v22
	v_cmp_eq_u32_e64 s0, 3, v22
	v_add_nc_u32_e32 v22, 0xfffffc10, v25
	s_or_b32 vcc_lo, s0, vcc_lo
	s_wait_alu 0xfffe
	v_add_co_ci_u32_e32 v17, vcc_lo, 0, v17, vcc_lo
	v_cmp_ne_u32_e32 vcc_lo, 0, v5
	s_wait_alu 0xfffd
	v_cndmask_b32_e64 v5, 0, 1, vcc_lo
	v_mul_f64_e32 v[15:16], s[8:9], v[15:16]
	s_delay_alu instid0(VALU_DEP_2) | instskip(SKIP_2) | instid1(VALU_DEP_2)
	v_lshl_or_b32 v5, v5, 9, 0x7c00
	v_and_b32_e32 v20, 0xffff, v20
	v_and_or_b32 v13, 0x1ff, v14, v13
	v_lshl_or_b32 v26, v19, 16, v20
	v_lshrrev_b32_e32 v19, v9, v24
	s_delay_alu instid0(VALU_DEP_3) | instskip(NEXT) | instid1(VALU_DEP_2)
	v_cmp_ne_u32_e64 s1, 0, v13
	v_lshlrev_b32_e32 v9, v9, v19
	s_wait_alu 0xf1ff
	s_delay_alu instid0(VALU_DEP_2) | instskip(NEXT) | instid1(VALU_DEP_2)
	v_cndmask_b32_e64 v13, 0, 1, s1
	v_cmp_ne_u32_e32 vcc_lo, v9, v24
	v_lshrrev_b32_e32 v24, 16, v18
	s_wait_alu 0xfffd
	v_cndmask_b32_e64 v9, 0, 1, vcc_lo
	v_cmp_gt_i32_e32 vcc_lo, 31, v23
	s_delay_alu instid0(VALU_DEP_3) | instskip(NEXT) | instid1(VALU_DEP_3)
	v_mul_f16_e32 v20, v85, v24
	v_or_b32_e32 v9, v19, v9
	s_wait_alu 0xfffd
	v_cndmask_b32_e32 v17, 0x7c00, v17, vcc_lo
	v_lshl_or_b32 v19, v22, 12, v7
	v_cmp_gt_i32_e32 vcc_lo, 1, v22
	v_fmac_f16_e32 v20, v81, v18
	v_mul_f16_e32 v18, v85, v18
	s_wait_alu 0xfffd
	v_cndmask_b32_e32 v9, v19, v9, vcc_lo
	s_delay_alu instid0(VALU_DEP_3)
	v_cvt_f32_f16_e32 v19, v20
	v_cmp_eq_u32_e32 vcc_lo, 0x40f, v23
	v_lshrrev_b32_e32 v23, 16, v6
	v_fma_f16 v18, v81, v24, -v18
	v_and_b32_e32 v25, 7, v9
	v_cvt_f64_f32_e32 v[19:20], v19
	s_wait_alu 0xfffd
	v_cndmask_b32_e32 v17, v17, v5, vcc_lo
	v_add_co_u32 v5, vcc_lo, v11, s2
	s_wait_alu 0xfffd
	v_add_co_ci_u32_e32 v6, vcc_lo, s3, v12, vcc_lo
	v_cmp_lt_i32_e32 vcc_lo, 5, v25
	v_cmp_eq_u32_e64 s0, 3, v25
	v_lshrrev_b32_e32 v9, 2, v9
	v_and_or_b32 v23, 0x8000, v23, v17
	v_lshrrev_b32_e32 v17, 8, v14
	v_bfe_u32 v25, v14, 20, 11
	s_or_b32 vcc_lo, s0, vcc_lo
	v_and_or_b32 v15, 0x1ff, v16, v15
	s_wait_alu 0xfffe
	v_add_co_ci_u32_e32 v9, vcc_lo, 0, v9, vcc_lo
	v_and_or_b32 v13, 0xffe, v17, v13
	v_sub_nc_u32_e32 v17, 0x3f1, v25
	v_cmp_ne_u32_e32 vcc_lo, 0, v7
	s_clause 0x1
	global_store_b32 v[11:12], v21, off
	global_store_b32 v[5:6], v26, off
	v_or_b32_e32 v24, 0x1000, v13
	v_med3_i32 v27, v17, 0, 13
	s_wait_alu 0xfffd
	v_cndmask_b32_e64 v7, 0, 1, vcc_lo
	v_cvt_f32_f16_e32 v17, v18
	v_cmp_gt_i32_e32 vcc_lo, 31, v22
	v_lshrrev_b32_e32 v28, v27, v24
	s_delay_alu instid0(VALU_DEP_4) | instskip(NEXT) | instid1(VALU_DEP_4)
	v_lshl_or_b32 v7, v7, 9, 0x7c00
	v_cvt_f64_f32_e32 v[17:18], v17
	s_wait_alu 0xfffd
	v_cndmask_b32_e32 v9, 0x7c00, v9, vcc_lo
	v_cmp_eq_u32_e32 vcc_lo, 0x40f, v22
	v_lshrrev_b32_e32 v22, 8, v16
	s_wait_alu 0xfffd
	s_delay_alu instid0(VALU_DEP_3)
	v_cndmask_b32_e32 v7, v9, v7, vcc_lo
	v_lshlrev_b32_e32 v9, v27, v28
	v_cmp_ne_u32_e32 vcc_lo, 0, v15
	v_bfe_u32 v27, v16, 20, 11
	v_mul_f64_e32 v[19:20], s[8:9], v[19:20]
	v_and_or_b32 v7, 0x8000, v8, v7
	v_lshrrev_b32_e32 v16, 16, v16
	s_wait_alu 0xfffd
	v_cndmask_b32_e64 v15, 0, 1, vcc_lo
	v_cmp_ne_u32_e32 vcc_lo, v9, v24
	v_add_nc_u32_e32 v24, 0xfffffc10, v25
	s_delay_alu instid0(VALU_DEP_3)
	v_and_or_b32 v15, 0xffe, v22, v15
	s_wait_alu 0xfffd
	v_cndmask_b32_e64 v9, 0, 1, vcc_lo
	v_sub_nc_u32_e32 v22, 0x3f1, v27
	v_lshl_or_b32 v25, v24, 12, v13
	v_cmp_gt_i32_e32 vcc_lo, 1, v24
	s_delay_alu instid0(VALU_DEP_4) | instskip(SKIP_3) | instid1(VALU_DEP_3)
	v_or_b32_e32 v9, v28, v9
	v_or_b32_e32 v28, 0x1000, v15
	v_med3_i32 v22, v22, 0, 13
	s_wait_alu 0xfffd
	v_dual_cndmask_b32 v9, v25, v9 :: v_dual_and_b32 v8, 0xffff, v23
	v_add_co_u32 v5, vcc_lo, v5, s6
	s_delay_alu instid0(VALU_DEP_3) | instskip(NEXT) | instid1(VALU_DEP_3)
	v_lshrrev_b32_e32 v23, v22, v28
	v_lshl_or_b32 v21, v7, 16, v8
	s_delay_alu instid0(VALU_DEP_4)
	v_and_b32_e32 v7, 7, v9
	s_wait_alu 0xfffd
	v_add_co_ci_u32_e32 v6, vcc_lo, s7, v6, vcc_lo
	v_lshlrev_b32_e32 v8, v22, v23
	v_lshrrev_b32_e32 v9, 2, v9
	v_cmp_lt_i32_e32 vcc_lo, 5, v7
	v_cmp_eq_u32_e64 s0, 3, v7
	v_add_nc_u32_e32 v22, 0xfffffc10, v27
	v_cmp_ne_u32_e64 s1, v8, v28
	v_mul_f64_e32 v[7:8], s[8:9], v[17:18]
	v_lshrrev_b32_e32 v25, 16, v10
	s_or_b32 vcc_lo, s0, vcc_lo
	v_lshl_or_b32 v12, v22, 12, v15
	v_cndmask_b32_e64 v11, 0, 1, s1
	s_wait_alu 0xfffe
	v_add_co_ci_u32_e32 v9, vcc_lo, 0, v9, vcc_lo
	v_cmp_gt_i32_e32 vcc_lo, 1, v22
	v_mul_f16_e32 v17, v82, v25
	v_or_b32_e32 v11, v23, v11
	v_cmp_eq_u32_e64 s1, 0x40f, v24
	v_lshrrev_b32_e32 v23, 8, v20
	v_bfe_u32 v26, v20, 20, 11
	v_fmac_f16_e32 v17, v79, v10
	s_wait_alu 0xfffd
	v_cndmask_b32_e32 v18, v12, v11, vcc_lo
	v_and_or_b32 v11, 0x1ff, v20, v19
	v_cmp_ne_u32_e32 vcc_lo, 0, v13
	v_mul_f16_e32 v10, v82, v10
	v_cvt_f32_f16_e32 v12, v17
	v_and_b32_e32 v19, 7, v18
	global_store_b32 v[5:6], v21, off
	s_wait_alu 0xfffd
	v_cndmask_b32_e64 v13, 0, 1, vcc_lo
	v_cmp_ne_u32_e32 vcc_lo, 0, v11
	v_cvt_f64_f32_e32 v[11:12], v12
	v_cmp_eq_u32_e64 s0, 3, v19
	v_fma_f16 v10, v79, v25, -v10
	v_lshl_or_b32 v13, v13, 9, 0x7c00
	s_wait_alu 0xfffd
	v_cndmask_b32_e64 v17, 0, 1, vcc_lo
	v_cmp_gt_i32_e32 vcc_lo, 31, v24
	v_cvt_f32_f16_e32 v10, v10
	s_delay_alu instid0(VALU_DEP_3)
	v_and_or_b32 v17, 0xffe, v23, v17
	s_wait_alu 0xfffd
	v_cndmask_b32_e32 v9, 0x7c00, v9, vcc_lo
	v_cmp_lt_i32_e32 vcc_lo, 5, v19
	v_sub_nc_u32_e32 v23, 0x3f1, v26
	v_or_b32_e32 v19, 0x1000, v17
	s_wait_alu 0xf1ff
	v_cndmask_b32_e64 v24, v9, v13, s1
	v_lshrrev_b32_e32 v9, 2, v18
	s_or_b32 vcc_lo, s0, vcc_lo
	v_lshrrev_b32_e32 v18, 16, v14
	v_med3_i32 v23, v23, 0, 13
	v_and_or_b32 v7, 0x1ff, v8, v7
	s_wait_alu 0xfffe
	v_add_co_ci_u32_e32 v14, vcc_lo, 0, v9, vcc_lo
	v_cmp_ne_u32_e32 vcc_lo, 0, v15
	v_lshrrev_b32_e32 v13, v23, v19
	v_bfe_u32 v27, v8, 20, 11
	s_wait_alu 0xfffd
	v_cndmask_b32_e64 v15, 0, 1, vcc_lo
	v_cmp_ne_u32_e32 vcc_lo, 0, v7
	v_lshlrev_b32_e32 v9, v23, v13
	v_lshrrev_b32_e32 v23, 8, v8
	v_add_nc_u32_e32 v21, 0xfffffc10, v27
	v_lshl_or_b32 v15, v15, 9, 0x7c00
	s_wait_alu 0xfffd
	v_cndmask_b32_e64 v7, 0, 1, vcc_lo
	v_cmp_ne_u32_e32 vcc_lo, v9, v19
	v_add_nc_u32_e32 v19, 0xfffffc10, v26
	v_lshrrev_b32_e32 v8, 16, v8
	v_mul_f64_e32 v[11:12], s[8:9], v[11:12]
	v_and_or_b32 v7, 0xffe, v23, v7
	v_sub_nc_u32_e32 v23, 0x3f1, v27
	s_wait_alu 0xfffd
	v_cndmask_b32_e64 v9, 0, 1, vcc_lo
	v_cmp_gt_i32_e32 vcc_lo, 31, v22
	v_lshl_or_b32 v25, v19, 12, v17
	v_or_b32_e32 v26, 0x1000, v7
	v_med3_i32 v23, v23, 0, 13
	v_or_b32_e32 v13, v13, v9
	s_wait_alu 0xfffd
	v_cndmask_b32_e32 v14, 0x7c00, v14, vcc_lo
	v_cmp_gt_i32_e32 vcc_lo, 1, v19
	v_cvt_f64_f32_e32 v[9:10], v10
	v_lshrrev_b32_e32 v28, v23, v26
	s_wait_alu 0xfffd
	v_cndmask_b32_e32 v25, v25, v13, vcc_lo
	v_cmp_eq_u32_e32 vcc_lo, 0x40f, v22
	s_delay_alu instid0(VALU_DEP_3) | instskip(SKIP_1) | instid1(VALU_DEP_3)
	v_lshlrev_b32_e32 v23, v23, v28
	s_wait_alu 0xfffd
	v_dual_cndmask_b32 v15, v14, v15 :: v_dual_and_b32 v22, 7, v25
	s_delay_alu instid0(VALU_DEP_2)
	v_cmp_ne_u32_e64 s0, v23, v26
	ds_load_2addr_b32 v[13:14], v4 offset0:160 offset1:216
	v_and_or_b32 v4, 0x8000, v18, v24
	v_cmp_lt_i32_e32 vcc_lo, 5, v22
	v_and_or_b32 v18, 0x8000, v16, v15
	s_wait_alu 0xf1ff
	v_cndmask_b32_e64 v15, 0, 1, s0
	v_cmp_eq_u32_e64 s0, 3, v22
	v_lshrrev_b32_e32 v16, 2, v25
	v_lshl_or_b32 v22, v21, 12, v7
	s_delay_alu instid0(VALU_DEP_4) | instskip(NEXT) | instid1(VALU_DEP_4)
	v_or_b32_e32 v15, v28, v15
	s_or_b32 vcc_lo, s0, vcc_lo
	s_wait_alu 0xfffe
	v_add_co_ci_u32_e32 v16, vcc_lo, 0, v16, vcc_lo
	v_cmp_gt_i32_e32 vcc_lo, 1, v21
	v_and_or_b32 v11, 0x1ff, v12, v11
	v_lshrrev_b32_e32 v25, 8, v12
	s_wait_alu 0xfffd
	v_cndmask_b32_e32 v15, v22, v15, vcc_lo
	v_cmp_ne_u32_e32 vcc_lo, 0, v17
	s_wait_dscnt 0x0
	v_lshrrev_b32_e32 v22, 16, v13
	v_cmp_ne_u32_e64 s1, 0, v11
	s_wait_alu 0xfffd
	v_cndmask_b32_e64 v17, 0, 1, vcc_lo
	v_cmp_gt_i32_e32 vcc_lo, 31, v19
	v_mul_f64_e32 v[9:10], s[8:9], v[9:10]
	v_mul_f16_e32 v24, v80, v22
	s_wait_alu 0xf1ff
	v_cndmask_b32_e64 v11, 0, 1, s1
	v_lshl_or_b32 v17, v17, 9, 0x7c00
	s_wait_alu 0xfffd
	v_dual_cndmask_b32 v23, 0x7c00, v16 :: v_dual_and_b32 v16, 7, v15
	v_lshrrev_b32_e32 v15, 2, v15
	v_fmac_f16_e32 v24, v77, v13
	v_and_or_b32 v11, 0xffe, v25, v11
	v_mul_f16_e32 v13, v80, v13
	v_cmp_lt_i32_e32 vcc_lo, 5, v16
	v_cmp_eq_u32_e64 s0, 3, v16
	v_cvt_f32_f16_e32 v16, v24
	v_bfe_u32 v24, v12, 20, 11
	v_or_b32_e32 v27, 0x1000, v11
	v_lshrrev_b32_e32 v12, 16, v12
	s_or_b32 vcc_lo, s0, vcc_lo
	s_wait_alu 0xfffe
	v_add_co_ci_u32_e32 v26, vcc_lo, 0, v15, vcc_lo
	v_cmp_ne_u32_e32 vcc_lo, 0, v7
	v_sub_nc_u32_e32 v25, 0x3f1, v24
	v_cvt_f64_f32_e32 v[15:16], v16
	s_wait_alu 0xfffd
	v_cndmask_b32_e64 v7, 0, 1, vcc_lo
	v_cmp_gt_i32_e32 vcc_lo, 31, v21
	v_med3_i32 v25, v25, 0, 13
	s_delay_alu instid0(VALU_DEP_3)
	v_lshl_or_b32 v7, v7, 9, 0x7c00
	s_wait_alu 0xfffd
	v_cndmask_b32_e32 v26, 0x7c00, v26, vcc_lo
	v_cmp_eq_u32_e32 vcc_lo, 0x40f, v19
	v_and_b32_e32 v4, 0xffff, v4
	v_lshrrev_b32_e32 v19, 16, v20
	v_lshrrev_b32_e32 v20, v25, v27
	s_wait_alu 0xfffd
	v_cndmask_b32_e32 v17, v23, v17, vcc_lo
	v_cmp_eq_u32_e32 vcc_lo, 0x40f, v21
	v_lshl_or_b32 v21, v18, 16, v4
	v_lshlrev_b32_e32 v4, v25, v20
	s_delay_alu instid0(VALU_DEP_4)
	v_and_or_b32 v19, 0x8000, v19, v17
	s_wait_alu 0xfffd
	v_cndmask_b32_e32 v7, v26, v7, vcc_lo
	v_lshrrev_b32_e32 v17, 8, v10
	v_cmp_ne_u32_e32 vcc_lo, v4, v27
	v_and_b32_e32 v19, 0xffff, v19
	s_delay_alu instid0(VALU_DEP_4)
	v_and_or_b32 v23, 0x8000, v8, v7
	v_fma_f16 v7, v77, v22, -v13
	v_and_or_b32 v8, 0x1ff, v10, v9
	s_wait_alu 0xfffd
	v_cndmask_b32_e64 v4, 0, 1, vcc_lo
	v_bfe_u32 v22, v10, 20, 11
	v_add_nc_u32_e32 v13, 0xfffffc10, v24
	v_cvt_f32_f16_e32 v7, v7
	v_cmp_ne_u32_e32 vcc_lo, 0, v8
	v_or_b32_e32 v4, v20, v4
	v_lshl_or_b32 v23, v23, 16, v19
	v_lshl_or_b32 v20, v13, 12, v11
	v_cvt_f64_f32_e32 v[7:8], v7
	s_wait_alu 0xfffd
	v_cndmask_b32_e64 v9, 0, 1, vcc_lo
	v_cmp_gt_i32_e32 vcc_lo, 1, v13
	v_mul_f64_e32 v[15:16], s[8:9], v[15:16]
	v_lshrrev_b32_e32 v10, 16, v10
	s_delay_alu instid0(VALU_DEP_4)
	v_and_or_b32 v24, 0xffe, v17, v9
	v_sub_nc_u32_e32 v9, 0x3f1, v22
	s_wait_alu 0xfffd
	v_cndmask_b32_e32 v25, v20, v4, vcc_lo
	v_add_co_u32 v4, vcc_lo, v5, s2
	v_or_b32_e32 v26, 0x1000, v24
	v_med3_i32 v9, v9, 0, 13
	s_wait_alu 0xfffd
	v_add_co_ci_u32_e32 v5, vcc_lo, s3, v6, vcc_lo
	v_and_b32_e32 v6, 7, v25
	v_add_co_u32 v19, vcc_lo, v4, s6
	v_lshrrev_b32_e32 v27, v9, v26
	s_wait_alu 0xfffd
	v_add_co_ci_u32_e32 v20, vcc_lo, s7, v5, vcc_lo
	v_cmp_lt_i32_e32 vcc_lo, 5, v6
	v_cmp_eq_u32_e64 s0, 3, v6
	v_lshlrev_b32_e32 v9, v9, v27
	v_lshrrev_b32_e32 v6, 2, v25
	v_add_nc_u32_e32 v22, 0xfffffc10, v22
	s_delay_alu instid0(VALU_DEP_4) | instskip(NEXT) | instid1(VALU_DEP_3)
	s_or_b32 vcc_lo, s0, vcc_lo
	v_cmp_ne_u32_e64 s1, v9, v26
	s_wait_alu 0xfffe
	v_add_co_ci_u32_e32 v26, vcc_lo, 0, v6, vcc_lo
	v_cmp_ne_u32_e32 vcc_lo, 0, v11
	s_wait_alu 0xf1ff
	v_cndmask_b32_e64 v9, 0, 1, s1
	s_delay_alu instid0(VALU_DEP_1)
	v_or_b32_e32 v9, v27, v9
	v_lshl_or_b32 v27, v22, 12, v24
	v_mul_f64_e32 v[6:7], s[8:9], v[7:8]
	s_wait_alu 0xfffd
	v_cndmask_b32_e64 v8, 0, 1, vcc_lo
	v_cmp_gt_i32_e32 vcc_lo, 1, v22
	v_add_nc_u32_e32 v18, 0x200, v67
	v_and_or_b32 v15, 0x1ff, v16, v15
	v_lshrrev_b32_e32 v29, 8, v16
	v_bfe_u32 v30, v16, 20, 11
	s_wait_alu 0xfffd
	v_cndmask_b32_e32 v11, v27, v9, vcc_lo
	ds_load_2addr_b32 v[17:18], v18 offset0:96 offset1:152
	v_cmp_gt_i32_e32 vcc_lo, 31, v13
	global_store_b32 v[4:5], v21, off
	global_store_b32 v[19:20], v23, off
	v_lshrrev_b32_e32 v16, 16, v16
	v_and_b32_e32 v27, 7, v11
	v_lshrrev_b32_e32 v11, 2, v11
	s_delay_alu instid0(VALU_DEP_2) | instskip(SKIP_2) | instid1(VALU_DEP_1)
	v_cmp_eq_u32_e64 s0, 3, v27
	s_wait_dscnt 0x0
	v_lshrrev_b32_e32 v28, 16, v17
	v_mul_f16_e32 v25, v78, v28
	s_delay_alu instid0(VALU_DEP_1) | instskip(SKIP_2) | instid1(VALU_DEP_3)
	v_fmac_f16_e32 v25, v75, v17
	v_mul_f16_e32 v17, v78, v17
	v_and_or_b32 v6, 0x1ff, v7, v6
	v_cvt_f32_f16_e32 v9, v25
	s_wait_alu 0xfffd
	v_cndmask_b32_e32 v25, 0x7c00, v26, vcc_lo
	v_cmp_ne_u32_e32 vcc_lo, 0, v15
	v_lshl_or_b32 v26, v8, 9, 0x7c00
	v_cvt_f64_f32_e32 v[8:9], v9
	s_wait_alu 0xfffd
	v_cndmask_b32_e64 v15, 0, 1, vcc_lo
	v_cmp_eq_u32_e32 vcc_lo, 0x40f, v13
	s_delay_alu instid0(VALU_DEP_2)
	v_and_or_b32 v15, 0xffe, v29, v15
	s_wait_alu 0xfffd
	v_cndmask_b32_e32 v13, v25, v26, vcc_lo
	v_cmp_lt_i32_e32 vcc_lo, 5, v27
	v_sub_nc_u32_e32 v25, 0x3f1, v30
	v_or_b32_e32 v26, 0x1000, v15
	s_delay_alu instid0(VALU_DEP_4) | instskip(SKIP_1) | instid1(VALU_DEP_3)
	v_and_or_b32 v13, 0x8000, v12, v13
	s_or_b32 vcc_lo, s0, vcc_lo
	v_med3_i32 v25, v25, 0, 13
	s_wait_alu 0xfffe
	v_add_co_ci_u32_e32 v11, vcc_lo, 0, v11, vcc_lo
	v_cmp_ne_u32_e32 vcc_lo, 0, v24
	v_and_b32_e32 v13, 0xffff, v13
	v_lshrrev_b32_e32 v27, v25, v26
	s_wait_alu 0xfffd
	v_cndmask_b32_e64 v24, 0, 1, vcc_lo
	v_cmp_gt_i32_e32 vcc_lo, 31, v22
	s_delay_alu instid0(VALU_DEP_2)
	v_lshl_or_b32 v12, v24, 9, 0x7c00
	s_wait_alu 0xfffd
	v_cndmask_b32_e32 v11, 0x7c00, v11, vcc_lo
	v_lshlrev_b32_e32 v24, v25, v27
	v_cmp_eq_u32_e32 vcc_lo, 0x40f, v22
	s_wait_alu 0xfffd
	s_delay_alu instid0(VALU_DEP_3) | instskip(NEXT) | instid1(VALU_DEP_3)
	v_dual_cndmask_b32 v22, v11, v12 :: v_dual_add_nc_u32 v25, 0xfffffc10, v30
	v_cmp_ne_u32_e32 vcc_lo, v24, v26
	v_fma_f16 v11, v75, v28, -v17
	v_lshrrev_b32_e32 v12, 8, v7
	v_bfe_u32 v24, v7, 20, 11
	v_mul_f64_e32 v[8:9], s[8:9], v[8:9]
	s_wait_alu 0xfffd
	v_cndmask_b32_e64 v17, 0, 1, vcc_lo
	v_cmp_ne_u32_e32 vcc_lo, 0, v6
	v_cvt_f32_f16_e32 v11, v11
	v_sub_nc_u32_e32 v26, 0x3f1, v24
	v_and_or_b32 v10, 0x8000, v10, v22
	v_or_b32_e32 v17, v27, v17
	s_wait_alu 0xfffd
	v_cndmask_b32_e64 v6, 0, 1, vcc_lo
	v_lshl_or_b32 v27, v25, 12, v15
	v_med3_i32 v26, v26, 0, 13
	v_cmp_gt_i32_e32 vcc_lo, 1, v25
	v_lshl_or_b32 v21, v10, 16, v13
	v_and_or_b32 v6, 0xffe, v12, v6
	v_cvt_f64_f32_e32 v[11:12], v11
	v_cmp_eq_u32_e64 s1, 0x40f, v25
	s_wait_alu 0xfffd
	v_cndmask_b32_e32 v17, v27, v17, vcc_lo
	v_add_co_u32 v4, vcc_lo, v19, s2
	v_or_b32_e32 v28, 0x1000, v6
	s_wait_alu 0xfffd
	v_add_co_ci_u32_e32 v5, vcc_lo, s3, v20, vcc_lo
	v_and_b32_e32 v10, 7, v17
	v_add_nc_u32_e32 v19, 0xfffffc10, v24
	v_lshrrev_b32_e32 v22, v26, v28
	v_lshrrev_b32_e32 v20, 16, v14
	;; [unrolled: 1-line block ×3, first 2 shown]
	v_cmp_lt_i32_e32 vcc_lo, 5, v10
	global_store_b32 v[4:5], v21, off
	v_lshlrev_b32_e32 v13, v26, v22
	s_delay_alu instid0(VALU_DEP_1) | instskip(SKIP_1) | instid1(VALU_DEP_1)
	v_cmp_ne_u32_e64 s0, v13, v28
	s_wait_alu 0xf1ff
	v_cndmask_b32_e64 v13, 0, 1, s0
	v_cmp_eq_u32_e64 s0, 3, v10
	v_lshrrev_b32_e32 v10, 2, v17
	v_lshl_or_b32 v17, v19, 12, v6
	v_and_or_b32 v8, 0x1ff, v9, v8
	v_or_b32_e32 v13, v22, v13
	s_or_b32 vcc_lo, s0, vcc_lo
	v_mul_f16_e32 v22, v76, v20
	s_wait_alu 0xfffe
	v_add_co_ci_u32_e32 v23, vcc_lo, 0, v10, vcc_lo
	v_cmp_gt_i32_e32 vcc_lo, 1, v19
	v_bfe_u32 v26, v9, 20, 11
	v_fmac_f16_e32 v22, v73, v14
	v_mul_f64_e32 v[10:11], s[8:9], v[11:12]
	v_mul_f16_e32 v14, v76, v14
	s_wait_alu 0xfffd
	v_cndmask_b32_e32 v17, v17, v13, vcc_lo
	v_cmp_ne_u32_e32 vcc_lo, 0, v15
	v_cvt_f32_f16_e32 v12, v22
	v_lshrrev_b32_e32 v22, 8, v9
	v_fma_f16 v14, v73, v20, -v14
	v_and_b32_e32 v24, 7, v17
	s_wait_alu 0xfffd
	v_cndmask_b32_e64 v15, 0, 1, vcc_lo
	v_cmp_ne_u32_e32 vcc_lo, 0, v8
	v_cvt_f64_f32_e32 v[12:13], v12
	v_cvt_f32_f16_e32 v14, v14
	v_cmp_eq_u32_e64 s0, 3, v24
	v_lshl_or_b32 v15, v15, 9, 0x7c00
	s_wait_alu 0xfffd
	v_cndmask_b32_e64 v8, 0, 1, vcc_lo
	v_cmp_gt_i32_e32 vcc_lo, 31, v25
	v_lshrrev_b32_e32 v9, 16, v9
	s_delay_alu instid0(VALU_DEP_3)
	v_and_or_b32 v8, 0xffe, v22, v8
	v_sub_nc_u32_e32 v22, 0x3f1, v26
	s_wait_alu 0xfffd
	v_cndmask_b32_e32 v23, 0x7c00, v23, vcc_lo
	v_cmp_lt_i32_e32 vcc_lo, 5, v24
	v_or_b32_e32 v24, 0x1000, v8
	v_med3_i32 v22, v22, 0, 13
	s_delay_alu instid0(VALU_DEP_4) | instskip(SKIP_1) | instid1(VALU_DEP_2)
	v_cndmask_b32_e64 v15, v23, v15, s1
	s_or_b32 vcc_lo, s0, vcc_lo
	v_lshrrev_b32_e32 v23, v22, v24
	s_delay_alu instid0(VALU_DEP_2) | instskip(NEXT) | instid1(VALU_DEP_2)
	v_and_or_b32 v16, 0x8000, v16, v15
	v_lshlrev_b32_e32 v15, v22, v23
	v_add_nc_u32_e32 v22, 0xfffffc10, v26
	v_lshrrev_b32_e32 v17, 2, v17
	v_and_or_b32 v10, 0x1ff, v11, v10
	v_lshrrev_b32_e32 v20, 8, v11
	s_wait_alu 0xfffe
	s_delay_alu instid0(VALU_DEP_3)
	v_add_co_ci_u32_e32 v17, vcc_lo, 0, v17, vcc_lo
	v_cmp_ne_u32_e32 vcc_lo, 0, v6
	v_mul_f64_e32 v[12:13], s[8:9], v[12:13]
	s_wait_alu 0xfffd
	v_cndmask_b32_e64 v6, 0, 1, vcc_lo
	v_cmp_gt_i32_e32 vcc_lo, 31, v19
	s_delay_alu instid0(VALU_DEP_2)
	v_lshl_or_b32 v6, v6, 9, 0x7c00
	s_wait_alu 0xfffd
	v_cndmask_b32_e32 v17, 0x7c00, v17, vcc_lo
	v_cmp_ne_u32_e32 vcc_lo, v15, v24
	v_lshrrev_b32_e32 v24, 16, v18
	s_wait_alu 0xfffd
	v_cndmask_b32_e64 v15, 0, 1, vcc_lo
	v_cmp_eq_u32_e32 vcc_lo, 0x40f, v19
	v_lshl_or_b32 v19, v22, 12, v8
	s_wait_alu 0xfffd
	v_cndmask_b32_e32 v6, v17, v6, vcc_lo
	v_cmp_ne_u32_e32 vcc_lo, 0, v10
	v_or_b32_e32 v17, v23, v15
	v_bfe_u32 v23, v11, 20, 11
	v_cvt_f64_f32_e32 v[14:15], v14
	v_and_or_b32 v6, 0x8000, v7, v6
	s_wait_alu 0xfffd
	v_cndmask_b32_e64 v10, 0, 1, vcc_lo
	v_cmp_gt_i32_e32 vcc_lo, 1, v22
	v_and_b32_e32 v7, 0xffff, v16
	v_lshrrev_b32_e32 v11, 16, v11
	s_delay_alu instid0(VALU_DEP_4)
	v_and_or_b32 v10, 0xffe, v20, v10
	s_wait_alu 0xfffd
	v_cndmask_b32_e32 v17, v19, v17, vcc_lo
	v_sub_nc_u32_e32 v19, 0x3f1, v23
	v_lshl_or_b32 v21, v6, 16, v7
	v_add_co_u32 v6, s1, v4, s6
	s_delay_alu instid0(VALU_DEP_4)
	v_and_b32_e32 v16, 7, v17
	v_or_b32_e32 v20, 0x1000, v10
	v_med3_i32 v19, v19, 0, 13
	v_lshrrev_b32_e32 v4, 2, v17
	s_wait_alu 0xf1ff
	v_add_co_ci_u32_e64 v7, s1, s7, v5, s1
	v_cmp_lt_i32_e32 vcc_lo, 5, v16
	v_cmp_eq_u32_e64 s0, 3, v16
	v_lshrrev_b32_e32 v16, v19, v20
	v_mul_f16_e32 v17, v74, v24
	v_and_or_b32 v12, 0x1ff, v13, v12
	global_store_b32 v[6:7], v21, off
	s_or_b32 vcc_lo, s0, vcc_lo
	v_lshlrev_b32_e32 v5, v19, v16
	s_wait_alu 0xfffe
	v_add_co_ci_u32_e32 v19, vcc_lo, 0, v4, vcc_lo
	v_fmac_f16_e32 v17, v71, v18
	v_add_co_u32 v6, s1, v6, s2
	v_cmp_ne_u32_e32 vcc_lo, v5, v20
	v_add_nc_u32_e32 v20, 0xfffffc10, v23
	s_delay_alu instid0(VALU_DEP_4)
	v_cvt_f32_f16_e32 v17, v17
	s_wait_alu 0xf1ff
	v_add_co_ci_u32_e64 v7, s1, s3, v7, s1
	s_wait_alu 0xfffd
	v_cndmask_b32_e64 v4, 0, 1, vcc_lo
	v_cmp_ne_u32_e32 vcc_lo, 0, v8
	v_lshl_or_b32 v23, v20, 12, v10
	v_lshrrev_b32_e32 v29, 16, v13
	s_delay_alu instid0(VALU_DEP_4)
	v_or_b32_e32 v16, v16, v4
	s_wait_alu 0xfffd
	v_cndmask_b32_e64 v8, 0, 1, vcc_lo
	v_cmp_gt_i32_e32 vcc_lo, 1, v20
	v_mul_f64_e32 v[4:5], s[8:9], v[14:15]
	v_cvt_f64_f32_e32 v[14:15], v17
	v_lshrrev_b32_e32 v17, 8, v13
	v_lshl_or_b32 v8, v8, 9, 0x7c00
	s_wait_alu 0xfffd
	v_cndmask_b32_e32 v16, v23, v16, vcc_lo
	v_cmp_ne_u32_e32 vcc_lo, 0, v12
	v_bfe_u32 v23, v13, 20, 11
	s_delay_alu instid0(VALU_DEP_3) | instskip(SKIP_3) | instid1(VALU_DEP_3)
	v_and_b32_e32 v25, 7, v16
	s_wait_alu 0xfffd
	v_cndmask_b32_e64 v12, 0, 1, vcc_lo
	v_cmp_gt_i32_e32 vcc_lo, 31, v22
	v_cmp_eq_u32_e64 s0, 3, v25
	s_delay_alu instid0(VALU_DEP_3)
	v_and_or_b32 v12, 0xffe, v17, v12
	s_wait_alu 0xfffd
	v_cndmask_b32_e32 v19, 0x7c00, v19, vcc_lo
	v_cmp_eq_u32_e32 vcc_lo, 0x40f, v22
	v_sub_nc_u32_e32 v17, 0x3f1, v23
	s_wait_alu 0xfffd
	s_delay_alu instid0(VALU_DEP_3) | instskip(SKIP_3) | instid1(VALU_DEP_4)
	v_cndmask_b32_e32 v8, v19, v8, vcc_lo
	v_cmp_lt_i32_e32 vcc_lo, 5, v25
	v_or_b32_e32 v19, 0x1000, v12
	v_med3_i32 v17, v17, 0, 13
	v_and_or_b32 v22, 0x8000, v9, v8
	v_lshrrev_b32_e32 v8, 2, v16
	s_or_b32 vcc_lo, s0, vcc_lo
	v_mul_f16_e32 v9, v74, v18
	v_lshrrev_b32_e32 v16, v17, v19
	s_wait_alu 0xfffe
	v_add_co_ci_u32_e32 v8, vcc_lo, 0, v8, vcc_lo
	v_cmp_ne_u32_e32 vcc_lo, 0, v10
	v_fma_f16 v9, v71, v24, -v9
	v_lshlrev_b32_e32 v17, v17, v16
	v_lshrrev_b32_e32 v24, 8, v5
	v_mul_f64_e32 v[14:15], s[8:9], v[14:15]
	s_wait_alu 0xfffd
	v_cndmask_b32_e64 v10, 0, 1, vcc_lo
	v_cmp_gt_i32_e32 vcc_lo, 31, v20
	v_bfe_u32 v25, v5, 20, 11
	s_delay_alu instid0(VALU_DEP_3)
	v_lshl_or_b32 v10, v10, 9, 0x7c00
	s_wait_alu 0xfffd
	v_cndmask_b32_e32 v18, 0x7c00, v8, vcc_lo
	v_cvt_f32_f16_e32 v8, v9
	v_cmp_ne_u32_e32 vcc_lo, v17, v19
	v_add_nc_u32_e32 v19, 0xfffffc10, v23
	v_and_or_b32 v23, 0x1ff, v5, v4
	v_add_nc_u32_e32 v4, 0xc00, v67
	v_cvt_f64_f32_e32 v[8:9], v8
	s_wait_alu 0xfffd
	v_cndmask_b32_e64 v17, 0, 1, vcc_lo
	v_cmp_eq_u32_e32 vcc_lo, 0x40f, v20
	v_lshl_or_b32 v20, v19, 12, v12
	v_lshrrev_b32_e32 v5, 16, v5
	s_wait_alu 0xfffd
	v_cndmask_b32_e32 v10, v18, v10, vcc_lo
	v_cmp_ne_u32_e32 vcc_lo, 0, v23
	v_or_b32_e32 v18, v16, v17
	ds_load_2addr_b32 v[16:17], v4 offset0:16 offset1:72
	v_and_or_b32 v10, 0x8000, v11, v10
	s_wait_alu 0xfffd
	v_cndmask_b32_e64 v23, 0, 1, vcc_lo
	v_cmp_gt_i32_e32 vcc_lo, 1, v19
	v_and_b32_e32 v11, 0xffff, v22
	s_wait_alu 0xfffd
	v_cndmask_b32_e32 v18, v20, v18, vcc_lo
	v_and_or_b32 v20, 0xffe, v24, v23
	v_sub_nc_u32_e32 v23, 0x3f1, v25
	v_lshl_or_b32 v21, v10, 16, v11
	s_delay_alu instid0(VALU_DEP_4) | instskip(NEXT) | instid1(VALU_DEP_4)
	v_and_b32_e32 v22, 7, v18
	v_or_b32_e32 v24, 0x1000, v20
	s_delay_alu instid0(VALU_DEP_4)
	v_med3_i32 v23, v23, 0, 13
	v_lshrrev_b32_e32 v10, 2, v18
	v_bfe_u32 v27, v15, 20, 11
	v_cmp_lt_i32_e32 vcc_lo, 5, v22
	v_cmp_eq_u32_e64 s0, 3, v22
	v_lshrrev_b32_e32 v22, v23, v24
	s_wait_dscnt 0x0
	v_lshrrev_b32_e32 v26, 16, v16
	global_store_b32 v[6:7], v21, off
	s_or_b32 vcc_lo, s0, vcc_lo
	v_lshlrev_b32_e32 v11, v23, v22
	v_mul_f16_e32 v18, v72, v26
	v_mul_f64_e32 v[8:9], s[8:9], v[8:9]
	s_wait_alu 0xfffe
	v_add_co_ci_u32_e32 v23, vcc_lo, 0, v10, vcc_lo
	v_and_or_b32 v10, 0x1ff, v15, v14
	v_cmp_ne_u32_e32 vcc_lo, v11, v24
	v_fmac_f16_e32 v18, v69, v16
	v_add_nc_u32_e32 v24, 0xfffffc10, v25
	v_lshrrev_b32_e32 v25, 8, v15
	v_lshrrev_b32_e32 v15, 16, v15
	s_wait_alu 0xfffd
	v_cndmask_b32_e64 v14, 0, 1, vcc_lo
	v_cmp_ne_u32_e32 vcc_lo, 0, v10
	v_cvt_f32_f16_e32 v11, v18
	s_delay_alu instid0(VALU_DEP_3)
	v_or_b32_e32 v14, v22, v14
	s_wait_alu 0xfffd
	v_cndmask_b32_e64 v18, 0, 1, vcc_lo
	v_cmp_ne_u32_e32 vcc_lo, 0, v12
	v_cvt_f64_f32_e32 v[10:11], v11
	v_lshl_or_b32 v22, v24, 12, v20
	s_delay_alu instid0(VALU_DEP_4) | instskip(SKIP_4) | instid1(VALU_DEP_3)
	v_and_or_b32 v25, 0xffe, v25, v18
	s_wait_alu 0xfffd
	v_cndmask_b32_e64 v12, 0, 1, vcc_lo
	v_cmp_gt_i32_e32 vcc_lo, 1, v24
	v_sub_nc_u32_e32 v18, 0x3f1, v27
	v_lshl_or_b32 v12, v12, 9, 0x7c00
	s_wait_alu 0xfffd
	v_cndmask_b32_e32 v14, v22, v14, vcc_lo
	v_cmp_gt_i32_e32 vcc_lo, 31, v19
	v_or_b32_e32 v22, 0x1000, v25
	v_med3_i32 v18, v18, 0, 13
	s_wait_alu 0xfffd
	v_dual_cndmask_b32 v23, 0x7c00, v23 :: v_dual_and_b32 v28, 7, v14
	v_cmp_eq_u32_e32 vcc_lo, 0x40f, v19
	s_delay_alu instid0(VALU_DEP_3) | instskip(SKIP_1) | instid1(VALU_DEP_4)
	v_lshrrev_b32_e32 v21, v18, v22
	v_lshrrev_b32_e32 v13, 2, v14
	v_cmp_eq_u32_e64 s0, 3, v28
	v_and_or_b32 v8, 0x1ff, v9, v8
	s_wait_alu 0xfffd
	v_cndmask_b32_e32 v23, v23, v12, vcc_lo
	v_cmp_lt_i32_e32 vcc_lo, 5, v28
	v_lshlrev_b32_e32 v12, v18, v21
	v_mul_f16_e32 v14, v72, v16
	v_add_nc_u32_e32 v16, 0xfffffc10, v27
	s_or_b32 vcc_lo, s0, vcc_lo
	s_delay_alu instid0(VALU_DEP_3)
	v_cmp_ne_u32_e64 s1, v12, v22
	s_wait_alu 0xfffe
	v_add_co_ci_u32_e32 v18, vcc_lo, 0, v13, vcc_lo
	v_cmp_ne_u32_e32 vcc_lo, 0, v8
	v_fma_f16 v14, v69, v26, -v14
	s_wait_alu 0xf1ff
	v_cndmask_b32_e64 v12, 0, 1, s1
	v_bfe_u32 v22, v9, 20, 11
	s_wait_alu 0xfffd
	v_cndmask_b32_e64 v8, 0, 1, vcc_lo
	v_cmp_ne_u32_e32 vcc_lo, 0, v20
	v_or_b32_e32 v19, v21, v12
	v_cvt_f32_f16_e32 v12, v14
	v_lshl_or_b32 v14, v16, 12, v25
	v_lshrrev_b32_e32 v21, 8, v9
	s_wait_alu 0xfffd
	v_cndmask_b32_e64 v20, 0, 1, vcc_lo
	v_cmp_gt_i32_e32 vcc_lo, 1, v16
	v_mul_f64_e32 v[10:11], s[8:9], v[10:11]
	v_cvt_f64_f32_e32 v[12:13], v12
	v_and_or_b32 v8, 0xffe, v21, v8
	v_lshl_or_b32 v20, v20, 9, 0x7c00
	s_wait_alu 0xfffd
	v_cndmask_b32_e32 v14, v14, v19, vcc_lo
	v_sub_nc_u32_e32 v19, 0x3f1, v22
	v_cmp_gt_i32_e32 vcc_lo, 31, v24
	v_or_b32_e32 v26, 0x1000, v8
	v_add_nc_u32_e32 v22, 0xfffffc10, v22
	v_and_b32_e32 v21, 7, v14
	v_med3_i32 v27, v19, 0, 13
	s_wait_alu 0xfffd
	v_cndmask_b32_e32 v18, 0x7c00, v18, vcc_lo
	v_cmp_eq_u32_e32 vcc_lo, 0x40f, v24
	v_lshrrev_b32_e32 v14, 2, v14
	v_cmp_eq_u32_e64 s0, 3, v21
	v_lshrrev_b32_e32 v24, v27, v26
	s_wait_alu 0xfffd
	v_cndmask_b32_e32 v20, v18, v20, vcc_lo
	v_cmp_lt_i32_e32 vcc_lo, 5, v21
	ds_load_2addr_b32 v[18:19], v3 offset0:80 offset1:136
	v_lshlrev_b32_e32 v21, v27, v24
	v_and_or_b32 v3, 0x8000, v29, v23
	v_and_or_b32 v5, 0x8000, v5, v20
	s_or_b32 vcc_lo, s0, vcc_lo
	s_wait_alu 0xfffe
	v_add_co_ci_u32_e32 v14, vcc_lo, 0, v14, vcc_lo
	v_cmp_ne_u32_e32 vcc_lo, v21, v26
	v_lshl_or_b32 v21, v22, 12, v8
	v_and_b32_e32 v3, 0xffff, v3
	s_wait_alu 0xfffd
	v_cndmask_b32_e64 v20, 0, 1, vcc_lo
	v_cmp_gt_i32_e32 vcc_lo, 31, v16
	s_delay_alu instid0(VALU_DEP_3) | instskip(NEXT) | instid1(VALU_DEP_3)
	v_lshl_or_b32 v3, v5, 16, v3
	v_or_b32_e32 v20, v24, v20
	s_wait_alu 0xfffd
	v_cndmask_b32_e32 v14, 0x7c00, v14, vcc_lo
	v_cmp_ne_u32_e32 vcc_lo, 0, v25
	v_and_or_b32 v10, 0x1ff, v11, v10
	v_mul_f64_e32 v[12:13], s[8:9], v[12:13]
	s_wait_dscnt 0x0
	v_lshrrev_b32_e32 v24, 16, v18
	v_bfe_u32 v26, v11, 20, 11
	s_wait_alu 0xfffd
	v_cndmask_b32_e64 v23, 0, 1, vcc_lo
	v_cmp_gt_i32_e32 vcc_lo, 1, v22
	v_mul_f16_e32 v25, v70, v24
	s_delay_alu instid0(VALU_DEP_3)
	v_lshl_or_b32 v23, v23, 9, 0x7c00
	s_wait_alu 0xfffd
	v_cndmask_b32_e32 v20, v21, v20, vcc_lo
	v_cmp_ne_u32_e32 vcc_lo, 0, v10
	v_lshrrev_b32_e32 v21, 8, v11
	v_fmac_f16_e32 v25, v66, v18
	s_delay_alu instid0(VALU_DEP_4)
	v_and_b32_e32 v27, 7, v20
	s_wait_alu 0xfffd
	v_cndmask_b32_e64 v10, 0, 1, vcc_lo
	v_cmp_eq_u32_e32 vcc_lo, 0x40f, v16
	v_cvt_f32_f16_e32 v16, v25
	v_cmp_eq_u32_e64 s0, 3, v27
	s_delay_alu instid0(VALU_DEP_4)
	v_and_or_b32 v10, 0xffe, v21, v10
	v_sub_nc_u32_e32 v21, 0x3f1, v26
	s_wait_alu 0xfffd
	v_cndmask_b32_e32 v14, v14, v23, vcc_lo
	v_cmp_lt_i32_e32 vcc_lo, 5, v27
	v_lshrrev_b32_e32 v27, 2, v20
	v_or_b32_e32 v23, 0x1000, v10
	v_med3_i32 v25, v21, 0, 13
	v_cvt_f64_f32_e32 v[20:21], v16
	s_or_b32 vcc_lo, s0, vcc_lo
	s_wait_alu 0xfffe
	v_add_co_ci_u32_e32 v27, vcc_lo, 0, v27, vcc_lo
	v_lshrrev_b32_e32 v16, v25, v23
	v_cmp_gt_i32_e32 vcc_lo, 31, v22
	s_delay_alu instid0(VALU_DEP_2)
	v_lshlrev_b32_e32 v5, v25, v16
	s_wait_alu 0xfffd
	v_cndmask_b32_e32 v27, 0x7c00, v27, vcc_lo
	v_and_or_b32 v12, 0x1ff, v13, v12
	v_and_or_b32 v25, 0x8000, v15, v14
	v_mul_f16_e32 v14, v70, v18
	v_cmp_ne_u32_e32 vcc_lo, v5, v23
	v_add_nc_u32_e32 v18, 0xfffffc10, v26
	v_lshrrev_b32_e32 v23, 8, v13
	s_delay_alu instid0(VALU_DEP_4)
	v_fma_f16 v14, v66, v24, -v14
	s_wait_alu 0xfffd
	v_cndmask_b32_e64 v5, 0, 1, vcc_lo
	v_cmp_ne_u32_e32 vcc_lo, 0, v8
	v_bfe_u32 v24, v13, 20, 11
	v_lshrrev_b32_e32 v13, 16, v13
	v_cvt_f32_f16_e32 v14, v14
	v_or_b32_e32 v5, v16, v5
	s_wait_alu 0xfffd
	v_cndmask_b32_e64 v8, 0, 1, vcc_lo
	v_cmp_ne_u32_e32 vcc_lo, 0, v12
	v_lshl_or_b32 v16, v18, 12, v10
	v_cvt_f64_f32_e32 v[14:15], v14
	s_delay_alu instid0(VALU_DEP_4) | instskip(SKIP_3) | instid1(VALU_DEP_2)
	v_lshl_or_b32 v8, v8, 9, 0x7c00
	s_wait_alu 0xfffd
	v_cndmask_b32_e64 v12, 0, 1, vcc_lo
	v_cmp_gt_i32_e32 vcc_lo, 1, v18
	v_and_or_b32 v12, 0xffe, v23, v12
	s_wait_alu 0xfffd
	v_cndmask_b32_e32 v16, v16, v5, vcc_lo
	v_cmp_eq_u32_e32 vcc_lo, 0x40f, v22
	v_sub_nc_u32_e32 v5, 0x3f1, v24
	v_lshrrev_b32_e32 v23, 16, v9
	v_add_nc_u32_e32 v24, 0xfffffc10, v24
	v_and_b32_e32 v26, 7, v16
	s_wait_alu 0xfffd
	v_cndmask_b32_e32 v22, v27, v8, vcc_lo
	v_or_b32_e32 v27, 0x1000, v12
	v_med3_i32 v28, v5, 0, 13
	v_mul_f64_e32 v[8:9], s[8:9], v[20:21]
	v_add_co_u32 v5, vcc_lo, v6, s6
	s_wait_alu 0xfffd
	v_add_co_ci_u32_e32 v6, vcc_lo, s7, v7, vcc_lo
	v_and_or_b32 v7, 0x8000, v23, v22
	v_and_b32_e32 v20, 0xffff, v25
	v_lshrrev_b32_e32 v21, v28, v27
	v_cmp_lt_i32_e32 vcc_lo, 5, v26
	v_cmp_eq_u32_e64 s0, 3, v26
	v_lshrrev_b32_e32 v25, 16, v17
	v_lshl_or_b32 v26, v7, 16, v20
	v_lshrrev_b32_e32 v7, 2, v16
	v_lshlrev_b32_e32 v16, v28, v21
	s_or_b32 vcc_lo, s0, vcc_lo
	v_mul_f16_e32 v20, v68, v25
	s_wait_alu 0xfffe
	v_add_co_ci_u32_e32 v7, vcc_lo, 0, v7, vcc_lo
	v_cmp_ne_u32_e32 vcc_lo, v16, v27
	s_delay_alu instid0(VALU_DEP_3)
	v_fmac_f16_e32 v20, v64, v17
	v_mul_f64_e32 v[14:15], s[8:9], v[14:15]
	s_wait_alu 0xfffd
	v_cndmask_b32_e64 v16, 0, 1, vcc_lo
	v_cmp_ne_u32_e32 vcc_lo, 0, v10
	v_cvt_f32_f16_e32 v20, v20
	s_delay_alu instid0(VALU_DEP_3) | instskip(SKIP_4) | instid1(VALU_DEP_3)
	v_or_b32_e32 v16, v21, v16
	s_wait_alu 0xfffd
	v_cndmask_b32_e64 v10, 0, 1, vcc_lo
	v_cmp_gt_i32_e32 vcc_lo, 31, v18
	v_lshl_or_b32 v21, v24, 12, v12
	v_lshl_or_b32 v10, v10, 9, 0x7c00
	s_wait_alu 0xfffd
	v_cndmask_b32_e32 v7, 0x7c00, v7, vcc_lo
	v_cmp_gt_i32_e32 vcc_lo, 1, v24
	v_and_or_b32 v8, 0x1ff, v9, v8
	s_wait_alu 0xfffd
	v_cndmask_b32_e32 v16, v21, v16, vcc_lo
	v_cvt_f64_f32_e32 v[20:21], v20
	v_add_co_u32 v22, vcc_lo, v5, s2
	s_wait_alu 0xfffd
	v_add_co_ci_u32_e32 v23, vcc_lo, s3, v6, vcc_lo
	v_cmp_eq_u32_e32 vcc_lo, 0x40f, v18
	v_and_b32_e32 v27, 7, v16
	v_cmp_ne_u32_e64 s0, 0, v8
	global_store_b32 v[5:6], v3, off
	global_store_b32 v[22:23], v26, off
	s_wait_alu 0xfffd
	v_cndmask_b32_e32 v7, v7, v10, vcc_lo
	v_lshrrev_b32_e32 v10, 16, v11
	v_cmp_lt_i32_e32 vcc_lo, 5, v27
	s_wait_alu 0xf1ff
	v_cndmask_b32_e64 v8, 0, 1, s0
	v_cmp_eq_u32_e64 s0, 3, v27
	v_lshrrev_b32_e32 v11, 8, v9
	v_and_or_b32 v18, 0x8000, v10, v7
	v_lshrrev_b32_e32 v7, 2, v16
	v_bfe_u32 v16, v9, 20, 11
	s_or_b32 vcc_lo, s0, vcc_lo
	v_and_or_b32 v27, 0xffe, v11, v8
	v_mul_f16_e32 v11, v68, v17
	s_wait_alu 0xfffe
	v_add_co_ci_u32_e32 v7, vcc_lo, 0, v7, vcc_lo
	v_cmp_ne_u32_e32 vcc_lo, 0, v12
	v_sub_nc_u32_e32 v8, 0x3f1, v16
	v_or_b32_e32 v12, 0x1000, v27
	v_fma_f16 v11, v64, v25, -v11
	v_and_or_b32 v14, 0x1ff, v15, v14
	s_wait_alu 0xfffd
	v_cndmask_b32_e64 v10, 0, 1, vcc_lo
	v_cmp_gt_i32_e32 vcc_lo, 31, v24
	v_med3_i32 v8, v8, 0, 13
	v_add_nc_u32_e32 v16, 0xfffffc10, v16
	v_and_b32_e32 v18, 0xffff, v18
	v_lshl_or_b32 v10, v10, 9, 0x7c00
	s_wait_alu 0xfffd
	v_cndmask_b32_e32 v7, 0x7c00, v7, vcc_lo
	v_cmp_eq_u32_e32 vcc_lo, 0x40f, v24
	v_lshrrev_b32_e32 v17, v8, v12
	s_wait_alu 0xfffd
	s_delay_alu instid0(VALU_DEP_3) | instskip(SKIP_1) | instid1(VALU_DEP_3)
	v_cndmask_b32_e32 v24, v7, v10, vcc_lo
	v_cvt_f32_f16_e32 v10, v11
	v_lshlrev_b32_e32 v25, v8, v17
	v_mul_f64_e32 v[7:8], s[8:9], v[20:21]
	v_cmp_ne_u32_e32 vcc_lo, 0, v14
	v_lshrrev_b32_e32 v20, 8, v15
	v_cvt_f64_f32_e32 v[10:11], v10
	v_bfe_u32 v21, v15, 20, 11
	v_and_or_b32 v13, 0x8000, v13, v24
	s_wait_alu 0xfffd
	v_cndmask_b32_e64 v14, 0, 1, vcc_lo
	v_cmp_ne_u32_e32 vcc_lo, v25, v12
	v_lshrrev_b32_e32 v15, 16, v15
	v_lshl_or_b32 v18, v13, 16, v18
	s_delay_alu instid0(VALU_DEP_4)
	v_and_or_b32 v14, 0xffe, v20, v14
	s_wait_alu 0xfffd
	v_cndmask_b32_e64 v12, 0, 1, vcc_lo
	v_sub_nc_u32_e32 v20, 0x3f1, v21
	v_cmp_gt_i32_e32 vcc_lo, 1, v16
	v_or_b32_e32 v25, 0x1000, v14
	s_delay_alu instid0(VALU_DEP_4) | instskip(SKIP_3) | instid1(VALU_DEP_2)
	v_or_b32_e32 v12, v17, v12
	v_lshl_or_b32 v17, v16, 12, v27
	v_med3_i32 v20, v20, 0, 13
	s_wait_alu 0xfffd
	v_cndmask_b32_e32 v12, v17, v12, vcc_lo
	s_delay_alu instid0(VALU_DEP_2) | instskip(SKIP_3) | instid1(VALU_DEP_3)
	v_lshrrev_b32_e32 v17, v20, v25
	v_add_co_u32 v5, vcc_lo, v22, s6
	s_wait_alu 0xfffd
	v_add_co_ci_u32_e32 v6, vcc_lo, s7, v23, vcc_lo
	v_lshlrev_b32_e32 v13, v20, v17
	v_and_b32_e32 v3, 7, v12
	v_add_nc_u32_e32 v20, 0xfffffc10, v21
	s_delay_alu instid0(VALU_DEP_3) | instskip(NEXT) | instid1(VALU_DEP_3)
	v_cmp_ne_u32_e64 s1, v13, v25
	v_cmp_lt_i32_e32 vcc_lo, 5, v3
	v_cmp_eq_u32_e64 s0, 3, v3
	v_lshrrev_b32_e32 v3, 2, v12
	v_and_or_b32 v7, 0x1ff, v8, v7
	s_wait_alu 0xf1ff
	v_cndmask_b32_e64 v12, 0, 1, s1
	v_lshl_or_b32 v13, v20, 12, v14
	s_or_b32 vcc_lo, s0, vcc_lo
	v_mul_f64_e32 v[10:11], s[8:9], v[10:11]
	s_wait_alu 0xfffe
	v_add_co_ci_u32_e32 v3, vcc_lo, 0, v3, vcc_lo
	v_cmp_ne_u32_e32 vcc_lo, 0, v7
	v_or_b32_e32 v12, v17, v12
	v_lshrrev_b32_e32 v17, 16, v19
	v_lshrrev_b32_e32 v21, 8, v8
	v_bfe_u32 v22, v8, 20, 11
	s_wait_alu 0xfffd
	v_cndmask_b32_e64 v7, 0, 1, vcc_lo
	v_cmp_gt_i32_e32 vcc_lo, 1, v20
	v_mul_f16_e32 v23, v65, v17
	v_cmp_eq_u32_e64 s1, 0x40f, v16
	s_delay_alu instid0(VALU_DEP_4)
	v_and_or_b32 v7, 0xffe, v21, v7
	s_wait_alu 0xfffd
	v_cndmask_b32_e32 v24, v13, v12, vcc_lo
	v_cmp_ne_u32_e32 vcc_lo, 0, v27
	v_sub_nc_u32_e32 v12, 0x3f1, v22
	v_fmac_f16_e32 v23, v62, v19
	v_or_b32_e32 v25, 0x1000, v7
	v_and_b32_e32 v21, 7, v24
	s_wait_alu 0xfffd
	v_cndmask_b32_e64 v13, 0, 1, vcc_lo
	v_cmp_gt_i32_e32 vcc_lo, 31, v16
	v_cvt_f32_f16_e32 v23, v23
	v_med3_i32 v26, v12, 0, 13
	v_cmp_eq_u32_e64 s0, 3, v21
	v_lshl_or_b32 v27, v13, 9, 0x7c00
	s_wait_alu 0xfffd
	v_cndmask_b32_e32 v3, 0x7c00, v3, vcc_lo
	v_cvt_f64_f32_e32 v[12:13], v23
	v_lshrrev_b32_e32 v23, v26, v25
	v_cmp_lt_i32_e32 vcc_lo, 5, v21
	v_mul_f16_e32 v19, v65, v19
	s_wait_alu 0xf1ff
	v_cndmask_b32_e64 v16, v3, v27, s1
	v_lshrrev_b32_e32 v3, 2, v24
	v_lshlrev_b32_e32 v21, v26, v23
	s_or_b32 vcc_lo, s0, vcc_lo
	v_lshrrev_b32_e32 v24, 16, v9
	v_fma_f16 v17, v62, v17, -v19
	s_wait_alu 0xfffe
	v_add_co_ci_u32_e32 v3, vcc_lo, 0, v3, vcc_lo
	v_cmp_ne_u32_e32 vcc_lo, v21, v25
	v_and_or_b32 v10, 0x1ff, v11, v10
	v_add_nc_u32_e32 v21, 0xfffffc10, v22
	v_and_or_b32 v16, 0x8000, v24, v16
	s_wait_alu 0xfffd
	v_cndmask_b32_e64 v9, 0, 1, vcc_lo
	v_cmp_ne_u32_e32 vcc_lo, 0, v14
	v_lshl_or_b32 v19, v21, 12, v7
	v_and_b32_e32 v16, 0xffff, v16
	s_delay_alu instid0(VALU_DEP_4)
	v_or_b32_e32 v9, v23, v9
	s_wait_alu 0xfffd
	v_cndmask_b32_e64 v14, 0, 1, vcc_lo
	v_cmp_ne_u32_e32 vcc_lo, 0, v10
	v_cvt_f32_f16_e32 v10, v17
	v_lshrrev_b32_e32 v17, 8, v11
	v_bfe_u32 v23, v11, 20, 11
	v_lshl_or_b32 v14, v14, 9, 0x7c00
	s_wait_alu 0xfffd
	v_cndmask_b32_e64 v22, 0, 1, vcc_lo
	v_cmp_gt_i32_e32 vcc_lo, 1, v21
	v_lshrrev_b32_e32 v11, 16, v11
	s_delay_alu instid0(VALU_DEP_3)
	v_and_or_b32 v17, 0xffe, v17, v22
	s_wait_alu 0xfffd
	v_cndmask_b32_e32 v19, v19, v9, vcc_lo
	v_cvt_f64_f32_e32 v[9:10], v10
	v_cmp_gt_i32_e32 vcc_lo, 31, v20
	v_sub_nc_u32_e32 v22, 0x3f1, v23
	v_or_b32_e32 v27, 0x1000, v17
	v_and_b32_e32 v26, 7, v19
	v_mul_f64_e32 v[12:13], s[8:9], v[12:13]
	s_wait_alu 0xfffd
	v_cndmask_b32_e32 v25, 0x7c00, v3, vcc_lo
	v_cmp_eq_u32_e32 vcc_lo, 0x40f, v20
	v_med3_i32 v22, v22, 0, 13
	v_cmp_eq_u32_e64 s0, 3, v26
	ds_load_2addr_b32 v[3:4], v4 offset0:128 offset1:184
	s_wait_alu 0xfffd
	v_cndmask_b32_e32 v14, v25, v14, vcc_lo
	v_lshrrev_b32_e32 v20, v22, v27
	v_cmp_lt_i32_e32 vcc_lo, 5, v26
	s_delay_alu instid0(VALU_DEP_3) | instskip(SKIP_1) | instid1(VALU_DEP_4)
	v_and_or_b32 v14, 0x8000, v15, v14
	v_lshrrev_b32_e32 v15, 2, v19
	v_lshlrev_b32_e32 v19, v22, v20
	s_or_b32 vcc_lo, s0, vcc_lo
	v_add_nc_u32_e32 v22, 0xfffffc10, v23
	s_wait_alu 0xfffe
	v_add_co_ci_u32_e32 v15, vcc_lo, 0, v15, vcc_lo
	v_cmp_ne_u32_e32 vcc_lo, v19, v27
	s_wait_alu 0xfffd
	v_cndmask_b32_e64 v19, 0, 1, vcc_lo
	v_cmp_gt_i32_e32 vcc_lo, 31, v21
	s_wait_dscnt 0x0
	v_lshrrev_b32_e32 v23, 16, v3
	s_delay_alu instid0(VALU_DEP_3)
	v_or_b32_e32 v19, v20, v19
	s_wait_alu 0xfffd
	v_cndmask_b32_e32 v15, 0x7c00, v15, vcc_lo
	v_cmp_ne_u32_e32 vcc_lo, 0, v7
	v_mul_f64_e32 v[9:10], s[8:9], v[9:10]
	v_lshl_or_b32 v20, v22, 12, v17
	v_mul_f16_e32 v24, v63, v23
	s_wait_alu 0xfffd
	v_cndmask_b32_e64 v7, 0, 1, vcc_lo
	v_cmp_gt_i32_e32 vcc_lo, 1, v22
	v_and_or_b32 v12, 0x1ff, v13, v12
	v_fmac_f16_e32 v24, v60, v3
	v_mul_f16_e32 v3, v63, v3
	v_lshl_or_b32 v7, v7, 9, 0x7c00
	s_wait_alu 0xfffd
	v_cndmask_b32_e32 v19, v20, v19, vcc_lo
	v_cmp_eq_u32_e32 vcc_lo, 0x40f, v21
	v_lshl_or_b32 v20, v14, 16, v16
	v_lshrrev_b32_e32 v16, 16, v8
	v_cmp_ne_u32_e64 s1, 0, v12
	v_and_b32_e32 v14, 7, v19
	s_wait_alu 0xfffd
	v_cndmask_b32_e32 v15, v15, v7, vcc_lo
	v_cvt_f32_f16_e32 v7, v24
	v_bfe_u32 v21, v13, 20, 11
	s_wait_alu 0xf1ff
	v_cndmask_b32_e64 v12, 0, 1, s1
	v_cmp_lt_i32_e32 vcc_lo, 5, v14
	v_cmp_eq_u32_e64 s0, 3, v14
	v_lshrrev_b32_e32 v14, 2, v19
	v_cvt_f64_f32_e32 v[7:8], v7
	v_lshrrev_b32_e32 v19, 8, v13
	v_fma_f16 v3, v60, v23, -v3
	s_or_b32 vcc_lo, s0, vcc_lo
	v_and_or_b32 v15, 0x8000, v16, v15
	s_wait_alu 0xfffe
	v_add_co_ci_u32_e32 v14, vcc_lo, 0, v14, vcc_lo
	v_cmp_ne_u32_e32 vcc_lo, 0, v17
	v_and_or_b32 v19, 0xffe, v19, v12
	v_sub_nc_u32_e32 v12, 0x3f1, v21
	v_cvt_f32_f16_e32 v3, v3
	v_add_nc_u32_e32 v21, 0xfffffc10, v21
	s_wait_alu 0xfffd
	v_cndmask_b32_e64 v17, 0, 1, vcc_lo
	v_cmp_gt_i32_e32 vcc_lo, 31, v22
	v_or_b32_e32 v24, 0x1000, v19
	v_med3_i32 v12, v12, 0, 13
	v_and_or_b32 v9, 0x1ff, v10, v9
	v_lshl_or_b32 v17, v17, 9, 0x7c00
	s_wait_alu 0xfffd
	v_cndmask_b32_e32 v14, 0x7c00, v14, vcc_lo
	v_cmp_eq_u32_e32 vcc_lo, 0x40f, v22
	v_lshrrev_b32_e32 v16, v12, v24
	v_bfe_u32 v23, v10, 20, 11
	v_and_b32_e32 v22, 0xffff, v15
	s_wait_alu 0xfffd
	v_cndmask_b32_e32 v14, v14, v17, vcc_lo
	v_cmp_ne_u32_e32 vcc_lo, 0, v9
	v_lshrrev_b32_e32 v9, 8, v10
	s_delay_alu instid0(VALU_DEP_3)
	v_and_or_b32 v17, 0x8000, v11, v14
	v_lshlrev_b32_e32 v14, v12, v16
	v_cvt_f64_f32_e32 v[11:12], v3
	s_wait_alu 0xfffd
	v_cndmask_b32_e64 v3, 0, 1, vcc_lo
	v_lshl_or_b32 v22, v17, 16, v22
	v_cmp_ne_u32_e32 vcc_lo, v14, v24
	v_lshl_or_b32 v24, v21, 12, v19
	s_delay_alu instid0(VALU_DEP_4)
	v_and_or_b32 v3, 0xffe, v9, v3
	v_sub_nc_u32_e32 v9, 0x3f1, v23
	v_mul_f64_e32 v[7:8], s[8:9], v[7:8]
	s_wait_alu 0xfffd
	v_cndmask_b32_e64 v14, 0, 1, vcc_lo
	v_or_b32_e32 v25, 0x1000, v3
	v_med3_i32 v9, v9, 0, 13
	s_delay_alu instid0(VALU_DEP_3)
	v_or_b32_e32 v16, v16, v14
	v_add_co_u32 v14, vcc_lo, v5, s2
	s_wait_alu 0xfffd
	v_add_co_ci_u32_e32 v15, vcc_lo, s3, v6, vcc_lo
	v_cmp_gt_i32_e32 vcc_lo, 1, v21
	v_lshrrev_b32_e32 v26, v9, v25
	s_wait_alu 0xfffd
	s_delay_alu instid0(VALU_DEP_1) | instskip(SKIP_3) | instid1(VALU_DEP_3)
	v_dual_cndmask_b32 v24, v24, v16 :: v_dual_lshlrev_b32 v9, v9, v26
	v_add_co_u32 v16, vcc_lo, v14, s6
	s_wait_alu 0xfffd
	v_add_co_ci_u32_e32 v17, vcc_lo, s7, v15, vcc_lo
	v_and_b32_e32 v27, 7, v24
	v_cmp_ne_u32_e64 s0, v9, v25
	global_store_b32 v[5:6], v18, off
	global_store_b32 v[14:15], v20, off
	;; [unrolled: 1-line block ×3, first 2 shown]
	v_lshrrev_b32_e32 v14, 2, v24
	v_add_nc_u32_e32 v15, 0xfffffc10, v23
	v_cmp_lt_i32_e32 vcc_lo, 5, v27
	s_wait_alu 0xf1ff
	v_cndmask_b32_e64 v9, 0, 1, s0
	v_cmp_eq_u32_e64 s0, 3, v27
	v_mul_f64_e32 v[5:6], s[8:9], v[11:12]
	v_lshl_or_b32 v11, v15, 12, v3
	v_lshrrev_b32_e32 v18, 16, v0
	v_or_b32_e32 v9, v26, v9
	s_or_b32 vcc_lo, s0, vcc_lo
	s_wait_alu 0xfffe
	v_add_co_ci_u32_e32 v12, vcc_lo, 0, v14, vcc_lo
	v_cmp_ne_u32_e32 vcc_lo, 0, v19
	v_and_or_b32 v7, 0x1ff, v8, v7
	v_mul_f16_e32 v19, v61, v18
	v_lshrrev_b32_e32 v20, 8, v8
	v_bfe_u32 v22, v8, 20, 11
	s_wait_alu 0xfffd
	v_cndmask_b32_e64 v14, 0, 1, vcc_lo
	v_cmp_gt_i32_e32 vcc_lo, 1, v15
	v_fmac_f16_e32 v19, v58, v0
	v_mul_f16_e32 v0, v61, v0
	s_wait_alu 0xfffd
	v_cndmask_b32_e32 v9, v11, v9, vcc_lo
	v_cmp_gt_i32_e32 vcc_lo, 31, v21
	s_delay_alu instid0(VALU_DEP_3)
	v_fma_f16 v0, v58, v18, -v0
	s_wait_alu 0xfffd
	v_cndmask_b32_e32 v11, 0x7c00, v12, vcc_lo
	v_cmp_ne_u32_e32 vcc_lo, 0, v7
	v_lshl_or_b32 v12, v14, 9, 0x7c00
	v_and_b32_e32 v14, 7, v9
	v_lshrrev_b32_e32 v9, 2, v9
	v_cvt_f32_f16_e32 v0, v0
	s_wait_alu 0xfffd
	v_cndmask_b32_e64 v7, 0, 1, vcc_lo
	v_cmp_eq_u32_e32 vcc_lo, 0x40f, v21
	v_cmp_eq_u32_e64 s0, 3, v14
	s_delay_alu instid0(VALU_DEP_3)
	v_and_or_b32 v7, 0xffe, v20, v7
	s_wait_alu 0xfffd
	v_cndmask_b32_e32 v21, v11, v12, vcc_lo
	v_sub_nc_u32_e32 v11, 0x3f1, v22
	v_cmp_lt_i32_e32 vcc_lo, 5, v14
	v_cvt_f32_f16_e32 v12, v19
	v_or_b32_e32 v14, 0x1000, v7
	v_lshrrev_b32_e32 v20, 16, v13
	v_med3_i32 v19, v11, 0, 13
	s_or_b32 vcc_lo, s0, vcc_lo
	v_cvt_f64_f32_e32 v[11:12], v12
	s_wait_alu 0xfffe
	v_add_co_ci_u32_e32 v9, vcc_lo, 0, v9, vcc_lo
	v_lshrrev_b32_e32 v13, v19, v14
	v_and_or_b32 v5, 0x1ff, v6, v5
	v_cmp_ne_u32_e32 vcc_lo, 0, v3
	v_lshrrev_b32_e32 v23, 8, v6
	v_bfe_u32 v18, v6, 20, 11
	v_lshlrev_b32_e32 v19, v19, v13
	s_wait_alu 0xfffd
	v_cndmask_b32_e64 v3, 0, 1, vcc_lo
	v_cmp_ne_u32_e32 vcc_lo, 0, v5
	s_delay_alu instid0(VALU_DEP_2)
	v_lshl_or_b32 v3, v3, 9, 0x7c00
	s_wait_alu 0xfffd
	v_cndmask_b32_e64 v5, 0, 1, vcc_lo
	v_cmp_ne_u32_e32 vcc_lo, v19, v14
	v_add_nc_u32_e32 v19, 0xfffffc10, v22
	v_sub_nc_u32_e32 v22, 0x3f1, v18
	v_add_nc_u32_e32 v18, 0xfffffc10, v18
	v_and_or_b32 v5, 0xffe, v23, v5
	s_wait_alu 0xfffd
	v_cndmask_b32_e64 v14, 0, 1, vcc_lo
	v_cmp_gt_i32_e32 vcc_lo, 31, v15
	v_lshl_or_b32 v24, v19, 12, v7
	v_med3_i32 v22, v22, 0, 13
	s_delay_alu instid0(VALU_DEP_4)
	v_or_b32_e32 v23, v13, v14
	v_cvt_f64_f32_e32 v[13:14], v0
	v_or_b32_e32 v0, 0x1000, v5
	s_wait_alu 0xfffd
	v_cndmask_b32_e32 v9, 0x7c00, v9, vcc_lo
	v_cmp_gt_i32_e32 vcc_lo, 1, v19
	s_wait_alu 0xfffd
	v_cndmask_b32_e32 v23, v24, v23, vcc_lo
	v_lshrrev_b32_e32 v24, v22, v0
	v_cmp_eq_u32_e32 vcc_lo, 0x40f, v15
	v_lshrrev_b32_e32 v15, 16, v10
	s_delay_alu instid0(VALU_DEP_4)
	v_and_b32_e32 v25, 7, v23
	s_wait_alu 0xfffd
	v_dual_cndmask_b32 v3, v9, v3 :: v_dual_lshlrev_b32 v22, v22, v24
	v_mul_f64_e32 v[9:10], s[8:9], v[11:12]
	v_lshrrev_b32_e32 v12, 2, v23
	v_cmp_lt_i32_e32 vcc_lo, 5, v25
	s_delay_alu instid0(VALU_DEP_4)
	v_cmp_ne_u32_e64 s0, v22, v0
	v_and_or_b32 v11, 0x8000, v20, v21
	v_and_or_b32 v3, 0x8000, v15, v3
	v_lshl_or_b32 v15, v18, 12, v5
	v_lshrrev_b32_e32 v21, 16, v4
	s_wait_alu 0xf1ff
	v_cndmask_b32_e64 v0, 0, 1, s0
	v_cmp_eq_u32_e64 s0, 3, v25
	v_and_b32_e32 v11, 0xffff, v11
	s_delay_alu instid0(VALU_DEP_3) | instskip(NEXT) | instid1(VALU_DEP_3)
	v_or_b32_e32 v0, v24, v0
	s_or_b32 vcc_lo, s0, vcc_lo
	s_delay_alu instid0(VALU_DEP_2)
	v_lshl_or_b32 v20, v3, 16, v11
	s_wait_alu 0xfffe
	v_add_co_ci_u32_e32 v12, vcc_lo, 0, v12, vcc_lo
	v_cmp_ne_u32_e32 vcc_lo, 0, v7
	v_lshrrev_b32_e32 v24, 16, v6
	s_wait_alu 0xfffd
	v_cndmask_b32_e64 v7, 0, 1, vcc_lo
	v_cmp_gt_i32_e32 vcc_lo, 1, v18
	s_delay_alu instid0(VALU_DEP_2) | instskip(SKIP_3) | instid1(VALU_DEP_2)
	v_lshl_or_b32 v7, v7, 9, 0x7c00
	s_wait_alu 0xfffd
	v_cndmask_b32_e32 v0, v15, v0, vcc_lo
	v_cmp_gt_i32_e32 vcc_lo, 31, v19
	v_and_b32_e32 v15, 7, v0
	s_wait_alu 0xfffd
	v_cndmask_b32_e32 v3, 0x7c00, v12, vcc_lo
	v_mul_f64_e32 v[11:12], s[8:9], v[13:14]
	v_add_co_u32 v13, vcc_lo, v16, s2
	s_wait_alu 0xfffd
	v_add_co_ci_u32_e32 v14, vcc_lo, s3, v17, vcc_lo
	v_cmp_eq_u32_e32 vcc_lo, 0x40f, v19
	v_cmp_eq_u32_e64 s0, 3, v15
	v_lshrrev_b32_e32 v0, 2, v0
	v_lshrrev_b32_e32 v19, 16, v8
	;; [unrolled: 1-line block ×3, first 2 shown]
	s_wait_alu 0xfffd
	v_cndmask_b32_e32 v17, v3, v7, vcc_lo
	v_cmp_lt_i32_e32 vcc_lo, 5, v15
	v_mul_f16_e32 v3, v59, v21
	v_and_or_b32 v7, 0x1ff, v10, v9
	v_bfe_u32 v9, v10, 20, 11
	v_mul_f16_e32 v15, v59, v4
	s_or_b32 vcc_lo, s0, vcc_lo
	v_fmac_f16_e32 v3, v57, v4
	s_wait_alu 0xfffe
	v_add_co_ci_u32_e32 v0, vcc_lo, 0, v0, vcc_lo
	v_cmp_ne_u32_e32 vcc_lo, 0, v7
	v_and_or_b32 v17, 0x8000, v19, v17
	v_cvt_f32_f16_e32 v3, v3
	s_wait_alu 0xfffd
	v_cndmask_b32_e64 v7, 0, 1, vcc_lo
	v_cmp_ne_u32_e32 vcc_lo, 0, v5
	s_delay_alu instid0(VALU_DEP_3) | instskip(SKIP_1) | instid1(VALU_DEP_4)
	v_cvt_f64_f32_e32 v[3:4], v3
	v_and_b32_e32 v17, 0xffff, v17
	v_and_or_b32 v22, 0xffe, v8, v7
	v_fma_f16 v7, v57, v21, -v15
	v_sub_nc_u32_e32 v8, 0x3f1, v9
	s_wait_alu 0xfffd
	v_cndmask_b32_e64 v5, 0, 1, vcc_lo
	v_cmp_gt_i32_e32 vcc_lo, 31, v18
	v_or_b32_e32 v21, 0x1000, v22
	v_cvt_f32_f16_e32 v15, v7
	v_med3_i32 v23, v8, 0, 13
	v_lshl_or_b32 v5, v5, 9, 0x7c00
	s_wait_alu 0xfffd
	v_cndmask_b32_e32 v0, 0x7c00, v0, vcc_lo
	v_and_or_b32 v11, 0x1ff, v12, v11
	v_cvt_f64_f32_e32 v[15:16], v15
	v_lshrrev_b32_e32 v19, v23, v21
	v_cmp_eq_u32_e32 vcc_lo, 0x40f, v18
	v_mad_co_u64_u32 v[7:8], null, s4, v56, 0
	v_add_nc_u32_e32 v9, 0xfffffc10, v9
	s_wait_alu 0xfffd
	v_dual_cndmask_b32 v18, v0, v5 :: v_dual_lshlrev_b32 v5, v23, v19
	v_cmp_ne_u32_e32 vcc_lo, 0, v11
	v_bfe_u32 v11, v12, 20, 11
	v_mov_b32_e32 v0, v8
	v_lshrrev_b32_e32 v8, 8, v12
	v_lshrrev_b32_e32 v12, 16, v12
	s_wait_alu 0xfffd
	v_cndmask_b32_e64 v6, 0, 1, vcc_lo
	v_cmp_ne_u32_e32 vcc_lo, v5, v21
	s_delay_alu instid0(VALU_DEP_2)
	v_and_or_b32 v23, 0xffe, v8, v6
	s_wait_alu 0xfffd
	v_cndmask_b32_e64 v21, 0, 1, vcc_lo
	v_mad_co_u64_u32 v[5:6], null, s5, v56, v[0:1]
	v_lshl_or_b32 v6, v9, 12, v22
	v_cmp_gt_i32_e32 vcc_lo, 1, v9
	s_delay_alu instid0(VALU_DEP_4)
	v_or_b32_e32 v0, v19, v21
	v_sub_nc_u32_e32 v8, 0x3f1, v11
	v_or_b32_e32 v19, 0x1000, v23
	v_mul_f64_e32 v[3:4], s[8:9], v[3:4]
	s_wait_alu 0xfffd
	v_dual_cndmask_b32 v0, v6, v0 :: v_dual_add_nc_u32 v11, 0xfffffc10, v11
	v_med3_i32 v21, v8, 0, 13
	v_and_or_b32 v6, 0x8000, v24, v18
	v_mov_b32_e32 v8, v5
	s_delay_alu instid0(VALU_DEP_4) | instskip(NEXT) | instid1(VALU_DEP_4)
	v_and_b32_e32 v24, 7, v0
	v_lshrrev_b32_e32 v18, v21, v19
	v_lshrrev_b32_e32 v0, 2, v0
	v_lshl_or_b32 v17, v6, 16, v17
	v_lshlrev_b64_e32 v[5:6], 2, v[7:8]
	v_cmp_lt_i32_e32 vcc_lo, 5, v24
	v_cmp_eq_u32_e64 s0, 3, v24
	v_lshlrev_b32_e32 v21, v21, v18
	v_mul_f64_e32 v[7:8], s[8:9], v[15:16]
	s_delay_alu instid0(VALU_DEP_3) | instskip(NEXT) | instid1(VALU_DEP_2)
	s_or_b32 vcc_lo, s0, vcc_lo
	v_cmp_ne_u32_e64 s1, v21, v19
	s_wait_alu 0xfffe
	v_add_co_ci_u32_e32 v0, vcc_lo, 0, v0, vcc_lo
	v_cmp_ne_u32_e32 vcc_lo, 0, v22
	s_wait_alu 0xf1ff
	v_cndmask_b32_e64 v15, 0, 1, s1
	s_wait_alu 0xfffd
	v_cndmask_b32_e64 v16, 0, 1, vcc_lo
	v_cmp_gt_i32_e32 vcc_lo, 31, v9
	s_delay_alu instid0(VALU_DEP_3) | instskip(SKIP_1) | instid1(VALU_DEP_4)
	v_or_b32_e32 v15, v18, v15
	v_lshl_or_b32 v18, v11, 12, v23
	v_lshl_or_b32 v16, v16, 9, 0x7c00
	s_wait_alu 0xfffd
	v_cndmask_b32_e32 v0, 0x7c00, v0, vcc_lo
	v_cmp_gt_i32_e32 vcc_lo, 1, v11
	v_and_or_b32 v3, 0x1ff, v4, v3
	s_wait_alu 0xfffd
	v_cndmask_b32_e32 v15, v18, v15, vcc_lo
	v_add_co_u32 v5, vcc_lo, v1, v5
	s_wait_alu 0xfffd
	v_add_co_ci_u32_e32 v6, vcc_lo, v2, v6, vcc_lo
	s_delay_alu instid0(VALU_DEP_3)
	v_and_b32_e32 v18, 7, v15
	v_cmp_eq_u32_e32 vcc_lo, 0x40f, v9
	v_lshrrev_b32_e32 v9, 2, v15
	v_cmp_ne_u32_e64 s1, 0, v3
	v_bfe_u32 v15, v4, 20, 11
	v_cmp_eq_u32_e64 s0, 3, v18
	s_wait_alu 0xfffd
	v_cndmask_b32_e32 v0, v0, v16, vcc_lo
	v_cmp_lt_i32_e32 vcc_lo, 5, v18
	v_lshrrev_b32_e32 v16, 16, v10
	s_wait_alu 0xf1ff
	v_cndmask_b32_e64 v3, 0, 1, s1
	v_lshrrev_b32_e32 v10, 8, v4
	v_and_or_b32 v7, 0x1ff, v8, v7
	s_or_b32 vcc_lo, s0, vcc_lo
	v_lshrrev_b32_e32 v21, 8, v8
	s_wait_alu 0xfffe
	v_add_co_ci_u32_e32 v9, vcc_lo, 0, v9, vcc_lo
	v_cmp_ne_u32_e32 vcc_lo, 0, v23
	v_and_or_b32 v3, 0xffe, v10, v3
	v_sub_nc_u32_e32 v10, 0x3f1, v15
	v_bfe_u32 v22, v8, 20, 11
	v_add_nc_u32_e32 v15, 0xfffffc10, v15
	s_wait_alu 0xfffd
	v_cndmask_b32_e64 v18, 0, 1, vcc_lo
	v_cmp_ne_u32_e32 vcc_lo, 0, v7
	v_or_b32_e32 v19, 0x1000, v3
	v_med3_i32 v10, v10, 0, 13
	v_and_or_b32 v16, 0x8000, v16, v0
	v_lshl_or_b32 v18, v18, 9, 0x7c00
	s_wait_alu 0xfffd
	v_cndmask_b32_e64 v7, 0, 1, vcc_lo
	v_cmp_gt_i32_e32 vcc_lo, 31, v11
	v_lshrrev_b32_e32 v23, v10, v19
	v_and_b32_e32 v16, 0xffff, v16
	v_cmp_gt_i32_e64 s1, 31, v15
	v_and_or_b32 v7, 0xffe, v21, v7
	s_wait_alu 0xfffd
	v_cndmask_b32_e32 v9, 0x7c00, v9, vcc_lo
	v_cmp_eq_u32_e32 vcc_lo, 0x40f, v11
	v_sub_nc_u32_e32 v21, 0x3f1, v22
	v_add_nc_u32_e32 v22, 0xfffffc10, v22
	v_or_b32_e32 v24, 0x1000, v7
	v_lshrrev_b32_e32 v4, 16, v4
	s_wait_alu 0xfffd
	v_dual_cndmask_b32 v11, v9, v18 :: v_dual_lshlrev_b32 v18, v10, v23
	v_med3_i32 v21, v21, 0, 13
	v_mad_co_u64_u32 v[9:10], null, s4, v55, 0
	s_delay_alu instid0(VALU_DEP_3) | instskip(NEXT) | instid1(VALU_DEP_4)
	v_and_or_b32 v12, 0x8000, v12, v11
	v_cmp_ne_u32_e32 vcc_lo, v18, v19
	s_delay_alu instid0(VALU_DEP_4) | instskip(SKIP_1) | instid1(VALU_DEP_4)
	v_lshrrev_b32_e32 v19, v21, v24
	v_cmp_gt_i32_e64 s0, 1, v22
	v_lshl_or_b32 v16, v12, 16, v16
	s_wait_alu 0xfffd
	v_cndmask_b32_e64 v18, 0, 1, vcc_lo
	v_lshlrev_b32_e32 v21, v21, v19
	v_cmp_gt_i32_e32 vcc_lo, 1, v15
	v_mov_b32_e32 v0, v10
	s_delay_alu instid0(VALU_DEP_4) | instskip(SKIP_1) | instid1(VALU_DEP_3)
	v_or_b32_e32 v18, v23, v18
	v_lshl_or_b32 v23, v15, 12, v3
	v_mad_co_u64_u32 v[10:11], null, s5, v55, v[0:1]
	s_wait_alu 0xfffd
	s_delay_alu instid0(VALU_DEP_2) | instskip(SKIP_1) | instid1(VALU_DEP_2)
	v_cndmask_b32_e32 v18, v23, v18, vcc_lo
	v_cmp_ne_u32_e32 vcc_lo, v21, v24
	v_and_b32_e32 v0, 7, v18
	s_wait_alu 0xfffd
	v_cndmask_b32_e64 v21, 0, 1, vcc_lo
	s_delay_alu instid0(VALU_DEP_2) | instskip(NEXT) | instid1(VALU_DEP_2)
	v_cmp_lt_i32_e32 vcc_lo, 5, v0
	v_or_b32_e32 v11, v19, v21
	v_lshl_or_b32 v19, v22, 12, v7
	s_wait_alu 0xf1ff
	s_delay_alu instid0(VALU_DEP_1) | instskip(SKIP_2) | instid1(VALU_DEP_3)
	v_cndmask_b32_e64 v11, v19, v11, s0
	v_cmp_eq_u32_e64 s0, 3, v0
	v_lshrrev_b32_e32 v0, 2, v18
	v_and_b32_e32 v12, 7, v11
	s_delay_alu instid0(VALU_DEP_3)
	s_or_b32 vcc_lo, s0, vcc_lo
	v_lshrrev_b32_e32 v11, 2, v11
	s_wait_alu 0xfffe
	v_add_co_ci_u32_e32 v0, vcc_lo, 0, v0, vcc_lo
	v_cmp_ne_u32_e32 vcc_lo, 0, v3
	v_cmp_eq_u32_e64 s0, 3, v12
	s_delay_alu instid0(VALU_DEP_3) | instskip(SKIP_3) | instid1(VALU_DEP_2)
	v_cndmask_b32_e64 v0, 0x7c00, v0, s1
	s_wait_alu 0xfffd
	v_cndmask_b32_e64 v3, 0, 1, vcc_lo
	v_cmp_lt_i32_e32 vcc_lo, 5, v12
	v_lshl_or_b32 v3, v3, 9, 0x7c00
	s_or_b32 vcc_lo, s0, vcc_lo
	s_wait_alu 0xfffe
	v_add_co_ci_u32_e32 v18, vcc_lo, 0, v11, vcc_lo
	v_cmp_ne_u32_e32 vcc_lo, 0, v7
	v_mad_co_u64_u32 v[11:12], null, 0x8c0, s4, v[13:14]
	s_wait_alu 0xfffd
	v_cndmask_b32_e64 v7, 0, 1, vcc_lo
	v_cmp_gt_i32_e32 vcc_lo, 31, v22
	s_delay_alu instid0(VALU_DEP_2)
	v_lshl_or_b32 v7, v7, 9, 0x7c00
	s_wait_alu 0xfffd
	v_cndmask_b32_e32 v18, 0x7c00, v18, vcc_lo
	v_cmp_eq_u32_e32 vcc_lo, 0x40f, v15
	s_wait_alu 0xfffd
	v_cndmask_b32_e32 v3, v0, v3, vcc_lo
	v_cmp_eq_u32_e32 vcc_lo, 0x40f, v22
	v_mov_b32_e32 v0, v12
	v_lshrrev_b32_e32 v12, 16, v8
	s_wait_alu 0xfffd
	v_cndmask_b32_e32 v15, v18, v7, vcc_lo
	v_and_or_b32 v18, 0x8000, v4, v3
	v_lshlrev_b64_e32 v[3:4], 2, v[9:10]
	v_mad_co_u64_u32 v[7:8], null, 0x8c0, s5, v[0:1]
	s_delay_alu instid0(VALU_DEP_4) | instskip(NEXT) | instid1(VALU_DEP_4)
	v_and_or_b32 v8, 0x8000, v12, v15
	v_and_b32_e32 v9, 0xffff, v18
	s_delay_alu instid0(VALU_DEP_4) | instskip(SKIP_2) | instid1(VALU_DEP_3)
	v_add_co_u32 v0, vcc_lo, v1, v3
	s_wait_alu 0xfffd
	v_add_co_ci_u32_e32 v1, vcc_lo, v2, v4, vcc_lo
	v_lshl_or_b32 v2, v8, 16, v9
	v_mov_b32_e32 v12, v7
	global_store_b32 v[13:14], v20, off
	s_clause 0x1
	global_store_b32 v[5:6], v17, off
	global_store_b32 v[0:1], v16, off
	global_store_b32 v[11:12], v2, off
.LBB0_10:
	s_nop 0
	s_sendmsg sendmsg(MSG_DEALLOC_VGPRS)
	s_endpgm
	.section	.rodata,"a",@progbits
	.p2align	6, 0x0
	.amdhsa_kernel bluestein_single_back_len1008_dim1_half_op_CI_CI
		.amdhsa_group_segment_fixed_size 4032
		.amdhsa_private_segment_fixed_size 0
		.amdhsa_kernarg_size 104
		.amdhsa_user_sgpr_count 2
		.amdhsa_user_sgpr_dispatch_ptr 0
		.amdhsa_user_sgpr_queue_ptr 0
		.amdhsa_user_sgpr_kernarg_segment_ptr 1
		.amdhsa_user_sgpr_dispatch_id 0
		.amdhsa_user_sgpr_private_segment_size 0
		.amdhsa_wavefront_size32 1
		.amdhsa_uses_dynamic_stack 0
		.amdhsa_enable_private_segment 0
		.amdhsa_system_sgpr_workgroup_id_x 1
		.amdhsa_system_sgpr_workgroup_id_y 0
		.amdhsa_system_sgpr_workgroup_id_z 0
		.amdhsa_system_sgpr_workgroup_info 0
		.amdhsa_system_vgpr_workitem_id 0
		.amdhsa_next_free_vgpr 243
		.amdhsa_next_free_sgpr 20
		.amdhsa_reserve_vcc 1
		.amdhsa_float_round_mode_32 0
		.amdhsa_float_round_mode_16_64 0
		.amdhsa_float_denorm_mode_32 3
		.amdhsa_float_denorm_mode_16_64 3
		.amdhsa_fp16_overflow 0
		.amdhsa_workgroup_processor_mode 1
		.amdhsa_memory_ordered 1
		.amdhsa_forward_progress 0
		.amdhsa_round_robin_scheduling 0
		.amdhsa_exception_fp_ieee_invalid_op 0
		.amdhsa_exception_fp_denorm_src 0
		.amdhsa_exception_fp_ieee_div_zero 0
		.amdhsa_exception_fp_ieee_overflow 0
		.amdhsa_exception_fp_ieee_underflow 0
		.amdhsa_exception_fp_ieee_inexact 0
		.amdhsa_exception_int_div_zero 0
	.end_amdhsa_kernel
	.text
.Lfunc_end0:
	.size	bluestein_single_back_len1008_dim1_half_op_CI_CI, .Lfunc_end0-bluestein_single_back_len1008_dim1_half_op_CI_CI
                                        ; -- End function
	.section	.AMDGPU.csdata,"",@progbits
; Kernel info:
; codeLenInByte = 34844
; NumSgprs: 22
; NumVgprs: 243
; ScratchSize: 0
; MemoryBound: 0
; FloatMode: 240
; IeeeMode: 1
; LDSByteSize: 4032 bytes/workgroup (compile time only)
; SGPRBlocks: 2
; VGPRBlocks: 30
; NumSGPRsForWavesPerEU: 22
; NumVGPRsForWavesPerEU: 243
; Occupancy: 5
; WaveLimiterHint : 1
; COMPUTE_PGM_RSRC2:SCRATCH_EN: 0
; COMPUTE_PGM_RSRC2:USER_SGPR: 2
; COMPUTE_PGM_RSRC2:TRAP_HANDLER: 0
; COMPUTE_PGM_RSRC2:TGID_X_EN: 1
; COMPUTE_PGM_RSRC2:TGID_Y_EN: 0
; COMPUTE_PGM_RSRC2:TGID_Z_EN: 0
; COMPUTE_PGM_RSRC2:TIDIG_COMP_CNT: 0
	.text
	.p2alignl 7, 3214868480
	.fill 96, 4, 3214868480
	.type	__hip_cuid_7f64844574d2477f,@object ; @__hip_cuid_7f64844574d2477f
	.section	.bss,"aw",@nobits
	.globl	__hip_cuid_7f64844574d2477f
__hip_cuid_7f64844574d2477f:
	.byte	0                               ; 0x0
	.size	__hip_cuid_7f64844574d2477f, 1

	.ident	"AMD clang version 19.0.0git (https://github.com/RadeonOpenCompute/llvm-project roc-6.4.0 25133 c7fe45cf4b819c5991fe208aaa96edf142730f1d)"
	.section	".note.GNU-stack","",@progbits
	.addrsig
	.addrsig_sym __hip_cuid_7f64844574d2477f
	.amdgpu_metadata
---
amdhsa.kernels:
  - .args:
      - .actual_access:  read_only
        .address_space:  global
        .offset:         0
        .size:           8
        .value_kind:     global_buffer
      - .actual_access:  read_only
        .address_space:  global
        .offset:         8
        .size:           8
        .value_kind:     global_buffer
      - .actual_access:  read_only
        .address_space:  global
        .offset:         16
        .size:           8
        .value_kind:     global_buffer
      - .actual_access:  read_only
        .address_space:  global
        .offset:         24
        .size:           8
        .value_kind:     global_buffer
      - .actual_access:  read_only
        .address_space:  global
        .offset:         32
        .size:           8
        .value_kind:     global_buffer
      - .offset:         40
        .size:           8
        .value_kind:     by_value
      - .address_space:  global
        .offset:         48
        .size:           8
        .value_kind:     global_buffer
      - .address_space:  global
        .offset:         56
        .size:           8
        .value_kind:     global_buffer
      - .address_space:  global
        .offset:         64
        .size:           8
        .value_kind:     global_buffer
      - .address_space:  global
        .offset:         72
        .size:           8
        .value_kind:     global_buffer
      - .offset:         80
        .size:           4
        .value_kind:     by_value
      - .address_space:  global
        .offset:         88
        .size:           8
        .value_kind:     global_buffer
      - .address_space:  global
        .offset:         96
        .size:           8
        .value_kind:     global_buffer
    .group_segment_fixed_size: 4032
    .kernarg_segment_align: 8
    .kernarg_segment_size: 104
    .language:       OpenCL C
    .language_version:
      - 2
      - 0
    .max_flat_workgroup_size: 56
    .name:           bluestein_single_back_len1008_dim1_half_op_CI_CI
    .private_segment_fixed_size: 0
    .sgpr_count:     22
    .sgpr_spill_count: 0
    .symbol:         bluestein_single_back_len1008_dim1_half_op_CI_CI.kd
    .uniform_work_group_size: 1
    .uses_dynamic_stack: false
    .vgpr_count:     243
    .vgpr_spill_count: 0
    .wavefront_size: 32
    .workgroup_processor_mode: 1
amdhsa.target:   amdgcn-amd-amdhsa--gfx1201
amdhsa.version:
  - 1
  - 2
...

	.end_amdgpu_metadata
